;; amdgpu-corpus repo=ROCm/rocFFT kind=compiled arch=gfx1201 opt=O3
	.text
	.amdgcn_target "amdgcn-amd-amdhsa--gfx1201"
	.amdhsa_code_object_version 6
	.protected	bluestein_single_back_len2197_dim1_half_op_CI_CI ; -- Begin function bluestein_single_back_len2197_dim1_half_op_CI_CI
	.globl	bluestein_single_back_len2197_dim1_half_op_CI_CI
	.p2align	8
	.type	bluestein_single_back_len2197_dim1_half_op_CI_CI,@function
bluestein_single_back_len2197_dim1_half_op_CI_CI: ; @bluestein_single_back_len2197_dim1_half_op_CI_CI
; %bb.0:
	s_load_b128 s[12:15], s[0:1], 0x28
	v_mul_u32_u24_e32 v1, 0x184, v0
	s_mov_b32 s2, exec_lo
	v_mov_b32_e32 v25, 0
	s_delay_alu instid0(VALU_DEP_2) | instskip(NEXT) | instid1(VALU_DEP_1)
	v_lshrrev_b32_e32 v1, 16, v1
	v_add_nc_u32_e32 v24, ttmp9, v1
	s_wait_kmcnt 0x0
	s_delay_alu instid0(VALU_DEP_1)
	v_cmpx_gt_u64_e64 s[12:13], v[24:25]
	s_cbranch_execz .LBB0_2
; %bb.1:
	s_clause 0x1
	s_load_b128 s[4:7], s[0:1], 0x18
	s_load_b128 s[8:11], s[0:1], 0x0
	v_mul_lo_u16 v1, 0xa9, v1
	s_delay_alu instid0(VALU_DEP_1) | instskip(NEXT) | instid1(VALU_DEP_1)
	v_sub_nc_u16 v12, v0, v1
	v_and_b32_e32 v50, 0xffff, v12
	s_wait_kmcnt 0x0
	s_load_b128 s[16:19], s[4:5], 0x0
	s_wait_kmcnt 0x0
	v_mad_co_u64_u32 v[0:1], null, s18, v24, 0
	v_mad_co_u64_u32 v[2:3], null, s16, v50, 0
	s_mul_u64 s[2:3], s[16:17], 0x2a4
	s_delay_alu instid0(VALU_DEP_1) | instskip(NEXT) | instid1(VALU_DEP_1)
	v_mad_co_u64_u32 v[4:5], null, s19, v24, v[1:2]
	v_mov_b32_e32 v1, v4
	s_delay_alu instid0(VALU_DEP_3)
	v_mad_co_u64_u32 v[5:6], null, s17, v50, v[3:4]
	v_lshlrev_b32_e32 v28, 2, v50
	s_clause 0x7
	global_load_b32 v58, v28, s[8:9]
	global_load_b32 v55, v28, s[8:9] offset:676
	global_load_b32 v53, v28, s[8:9] offset:1352
	;; [unrolled: 1-line block ×7, first 2 shown]
	v_mov_b32_e32 v3, v5
	v_lshlrev_b64_e32 v[0:1], 2, v[0:1]
	v_add_nc_u32_e32 v56, 0x400, v28
	v_add_nc_u32_e32 v51, 0xa00, v28
	;; [unrolled: 1-line block ×3, first 2 shown]
	v_lshlrev_b64_e32 v[2:3], 2, v[2:3]
	v_add_nc_u32_e32 v40, 0x1400, v28
	v_add_co_u32 v0, vcc_lo, s14, v0
	v_add_co_ci_u32_e32 v1, vcc_lo, s15, v1, vcc_lo
	v_add_nc_u32_e32 v35, 0x1a00, v28
	s_delay_alu instid0(VALU_DEP_3) | instskip(SKIP_1) | instid1(VALU_DEP_3)
	v_add_co_u32 v0, vcc_lo, v0, v2
	s_wait_alu 0xfffd
	v_add_co_ci_u32_e32 v1, vcc_lo, v1, v3, vcc_lo
	global_load_b32 v4, v[0:1], off
	v_add_co_u32 v0, vcc_lo, v0, s2
	s_wait_alu 0xfffd
	v_add_co_ci_u32_e32 v1, vcc_lo, s3, v1, vcc_lo
	s_clause 0x4
	global_load_b32 v37, v28, s[8:9] offset:5408
	global_load_b32 v34, v28, s[8:9] offset:6084
	;; [unrolled: 1-line block ×5, first 2 shown]
	v_add_co_u32 v2, vcc_lo, v0, s2
	s_wait_alu 0xfffd
	v_add_co_ci_u32_e32 v3, vcc_lo, s3, v1, vcc_lo
	global_load_b32 v5, v[0:1], off
	v_add_co_u32 v0, vcc_lo, v2, s2
	s_wait_alu 0xfffd
	v_add_co_ci_u32_e32 v1, vcc_lo, s3, v3, vcc_lo
	s_clause 0x1
	global_load_b32 v6, v[2:3], off
	global_load_b32 v7, v[0:1], off
	v_add_co_u32 v0, vcc_lo, v0, s2
	s_wait_alu 0xfffd
	v_add_co_ci_u32_e32 v1, vcc_lo, s3, v1, vcc_lo
	s_delay_alu instid0(VALU_DEP_2) | instskip(SKIP_1) | instid1(VALU_DEP_2)
	v_add_co_u32 v2, vcc_lo, v0, s2
	s_wait_alu 0xfffd
	v_add_co_ci_u32_e32 v3, vcc_lo, s3, v1, vcc_lo
	global_load_b32 v8, v[0:1], off
	v_add_co_u32 v0, vcc_lo, v2, s2
	s_wait_alu 0xfffd
	v_add_co_ci_u32_e32 v1, vcc_lo, s3, v3, vcc_lo
	global_load_b32 v9, v[2:3], off
	global_load_b32 v10, v[0:1], off
	v_add_co_u32 v0, vcc_lo, v0, s2
	s_wait_alu 0xfffd
	v_add_co_ci_u32_e32 v1, vcc_lo, s3, v1, vcc_lo
	s_delay_alu instid0(VALU_DEP_2) | instskip(SKIP_1) | instid1(VALU_DEP_2)
	v_add_co_u32 v2, vcc_lo, v0, s2
	s_wait_alu 0xfffd
	v_add_co_ci_u32_e32 v3, vcc_lo, s3, v1, vcc_lo
	global_load_b32 v11, v[0:1], off
	v_add_co_u32 v0, vcc_lo, v2, s2
	s_wait_alu 0xfffd
	v_add_co_ci_u32_e32 v1, vcc_lo, s3, v3, vcc_lo
	global_load_b32 v13, v[2:3], off
	;; [unrolled: 4-line block ×5, first 2 shown]
	global_load_b32 v1, v[2:3], off
	s_load_b128 s[4:7], s[6:7], 0x0
	s_add_nc_u64 s[2:3], s[8:9], 0x2254
	s_wait_loadcnt 0x19
	v_lshrrev_b32_e32 v59, 16, v58
	s_wait_loadcnt 0x18
	v_lshrrev_b32_e32 v57, 16, v55
	;; [unrolled: 2-line block ×9, first 2 shown]
	v_mul_f16_e32 v3, v59, v4
	s_wait_loadcnt 0x10
	v_lshrrev_b32_e32 v38, 16, v37
	s_wait_loadcnt 0xf
	v_lshrrev_b32_e32 v36, 16, v34
	;; [unrolled: 2-line block ×3, first 2 shown]
	v_mul_f16_e32 v16, v59, v2
	v_fma_f16 v2, v58, v2, -v3
	s_wait_loadcnt 0xd
	v_lshrrev_b32_e32 v31, 16, v30
	s_wait_loadcnt 0xc
	v_lshrrev_b32_e32 v29, 16, v27
	;; [unrolled: 2-line block ×3, first 2 shown]
	v_mul_f16_e32 v18, v57, v5
	v_fmac_f16_e32 v16, v58, v4
	s_delay_alu instid0(VALU_DEP_3)
	v_mul_f16_e32 v3, v57, v17
	s_wait_loadcnt 0xa
	v_lshrrev_b32_e32 v4, 16, v6
	v_fma_f16 v17, v55, v17, -v18
	v_mul_f16_e32 v18, v54, v6
	v_pack_b32_f16 v2, v16, v2
	v_fmac_f16_e32 v3, v55, v5
	v_mul_f16_e32 v5, v54, v4
	s_wait_loadcnt 0x9
	v_lshrrev_b32_e32 v16, 16, v7
	v_mul_f16_e32 v19, v52, v7
	v_fma_f16 v4, v53, v4, -v18
	v_pack_b32_f16 v3, v3, v17
	v_fmac_f16_e32 v5, v53, v6
	v_mul_f16_e32 v6, v52, v16
	s_wait_loadcnt 0x8
	v_lshrrev_b32_e32 v17, 16, v8
	v_fma_f16 v16, v49, v16, -v19
	v_mul_f16_e32 v18, v48, v8
	ds_store_2addr_b32 v28, v2, v3 offset1:169
	v_pack_b32_f16 v2, v5, v4
	v_fmac_f16_e32 v6, v49, v7
	v_mul_f16_e32 v3, v48, v17
	s_wait_loadcnt 0x7
	v_lshrrev_b32_e32 v4, 16, v9
	v_mul_f16_e32 v5, v46, v9
	v_fma_f16 v7, v47, v17, -v18
	v_pack_b32_f16 v6, v6, v16
	v_fmac_f16_e32 v3, v47, v8
	v_mul_f16_e32 v8, v46, v4
	v_fma_f16 v4, v44, v4, -v5
	s_wait_loadcnt 0x6
	v_lshrrev_b32_e32 v5, 16, v10
	v_mul_f16_e32 v16, v43, v10
	ds_store_2addr_b32 v56, v2, v6 offset0:82 offset1:251
	v_pack_b32_f16 v2, v3, v7
	v_fmac_f16_e32 v8, v44, v9
	v_mul_f16_e32 v3, v43, v5
	s_wait_loadcnt 0x5
	v_lshrrev_b32_e32 v6, 16, v11
	v_mul_f16_e32 v7, v41, v11
	v_fma_f16 v5, v42, v5, -v16
	v_pack_b32_f16 v4, v8, v4
	v_fmac_f16_e32 v3, v42, v10
	v_mul_f16_e32 v8, v41, v6
	v_fma_f16 v6, v39, v6, -v7
	s_wait_loadcnt 0x4
	v_lshrrev_b32_e32 v7, 16, v13
	v_mul_f16_e32 v9, v38, v13
	v_pack_b32_f16 v3, v3, v5
	v_fmac_f16_e32 v8, v39, v11
	s_wait_loadcnt 0x3
	v_lshrrev_b32_e32 v5, 16, v14
	v_mul_f16_e32 v10, v38, v7
	v_fma_f16 v7, v37, v7, -v9
	v_mul_f16_e32 v9, v36, v14
	v_pack_b32_f16 v6, v8, v6
	v_mul_f16_e32 v8, v36, v5
	v_fmac_f16_e32 v10, v37, v13
	s_wait_loadcnt 0x2
	v_lshrrev_b32_e32 v11, 16, v15
	v_fma_f16 v5, v34, v5, -v9
	v_mul_f16_e32 v9, v33, v15
	s_wait_loadcnt 0x1
	v_lshrrev_b32_e32 v13, 16, v0
	s_wait_loadcnt 0x0
	v_lshrrev_b32_e32 v16, 16, v1
	v_fmac_f16_e32 v8, v34, v14
	v_mul_f16_e32 v14, v33, v11
	v_fma_f16 v9, v32, v11, -v9
	v_mul_f16_e32 v11, v31, v0
	v_mul_f16_e32 v17, v31, v13
	;; [unrolled: 1-line block ×4, first 2 shown]
	v_fmac_f16_e32 v14, v32, v15
	v_fma_f16 v11, v30, v13, -v11
	v_fmac_f16_e32 v17, v30, v0
	v_fma_f16 v0, v27, v16, -v18
	v_fmac_f16_e32 v19, v27, v1
	v_pack_b32_f16 v1, v10, v7
	v_pack_b32_f16 v5, v8, v5
	;; [unrolled: 1-line block ×5, first 2 shown]
	ds_store_2addr_b32 v51, v2, v4 offset0:36 offset1:205
	ds_store_2addr_b32 v45, v3, v6 offset0:54 offset1:223
	;; [unrolled: 1-line block ×4, first 2 shown]
	ds_store_b32 v28, v0 offset:8112
	global_wb scope:SCOPE_SE
	s_wait_dscnt 0x0
	s_wait_kmcnt 0x0
	s_barrier_signal -1
	s_barrier_wait -1
	global_inv scope:SCOPE_SE
	ds_load_2addr_b32 v[6:7], v28 offset1:169
	ds_load_2addr_b32 v[10:11], v56 offset0:82 offset1:251
	ds_load_2addr_b32 v[8:9], v51 offset0:36 offset1:205
	ds_load_2addr_b32 v[4:5], v45 offset0:54 offset1:223
	ds_load_2addr_b32 v[2:3], v40 offset0:72 offset1:241
	ds_load_2addr_b32 v[0:1], v35 offset0:26 offset1:195
	ds_load_b32 v13, v28 offset:8112
	global_wb scope:SCOPE_SE
	s_wait_dscnt 0x0
	s_barrier_signal -1
	s_barrier_wait -1
	global_inv scope:SCOPE_SE
	v_lshrrev_b32_e32 v80, 16, v7
	v_lshrrev_b32_e32 v62, 16, v6
	;; [unrolled: 1-line block ×6, first 2 shown]
	v_add_f16_e32 v63, v13, v7
	v_sub_f16_e32 v81, v7, v13
	v_add_f16_e32 v7, v7, v6
	v_add_f16_e32 v87, v80, v62
	;; [unrolled: 1-line block ×3, first 2 shown]
	v_sub_f16_e32 v82, v10, v1
	v_add_f16_e32 v65, v0, v11
	v_add_f16_e32 v79, v7, v10
	v_sub_f16_e32 v83, v11, v0
	v_add_f16_e32 v10, v15, v67
	v_sub_f16_e32 v7, v67, v15
	v_add_f16_e32 v67, v87, v67
	v_add_f16_e32 v11, v79, v11
	;; [unrolled: 1-line block ×3, first 2 shown]
	v_sub_f16_e32 v84, v8, v3
	v_lshrrev_b32_e32 v21, 16, v9
	v_lshrrev_b32_e32 v20, 16, v4
	v_add_f16_e32 v8, v11, v8
	v_add_f16_e32 v11, v67, v61
	v_lshrrev_b32_e32 v19, 16, v5
	v_lshrrev_b32_e32 v14, 16, v13
	v_add_f16_e32 v23, v5, v4
	v_add_f16_e32 v8, v8, v9
	;; [unrolled: 1-line block ×3, first 2 shown]
	v_sub_f16_e32 v25, v4, v5
	v_lshrrev_b32_e32 v18, 16, v2
	v_lshrrev_b32_e32 v17, 16, v3
	v_add_f16_e32 v4, v8, v4
	v_add_f16_e32 v11, v11, v21
	v_lshrrev_b32_e32 v16, 16, v0
	v_sub_f16_e32 v78, v80, v14
	v_add_f16_e32 v26, v2, v9
	v_add_f16_e32 v4, v4, v5
	;; [unrolled: 1-line block ×3, first 2 shown]
	v_sub_f16_e32 v60, v9, v2
	v_add_f16_e32 v68, v14, v80
	v_mul_f16_e32 v77, 0xb770, v81
	v_mul_f16_e32 v74, 0xba95, v81
	v_add_f16_e32 v11, v11, v19
	v_mul_f16_e32 v71, 0xbbf1, v81
	v_mul_f16_e32 v69, 0xbb7b, v81
	;; [unrolled: 1-line block ×7, first 2 shown]
	v_pack_b32_f16 v85, v81, v63
	v_mul_f16_e32 v86, 0x3bf1, v82
	v_mul_f16_e32 v88, 0xbbf1, v83
	v_mul_f16_e32 v89, 0xb3a8, v83
	v_mul_f16_e32 v90, 0x3b7b, v83
	v_mul_f16_e32 v91, 0x3770, v83
	v_mul_f16_e32 v92, 0xba95, v83
	v_add_f16_e32 v93, v16, v61
	v_sub_f16_e32 v94, v61, v16
	v_mul_f16_e32 v95, 0xbb7b, v84
	v_mul_f16_e32 v96, 0x394e, v84
	;; [unrolled: 1-line block ×5, first 2 shown]
	v_add_f16_e32 v100, v17, v22
	v_sub_f16_e32 v101, v22, v17
	v_mul_f16_e32 v79, 0xb770, v78
	v_mul_f16_e32 v112, 0xba95, v78
	;; [unrolled: 1-line block ×3, first 2 shown]
	v_add_f16_e32 v2, v4, v2
	v_add_f16_e32 v11, v11, v18
	v_pack_b32_f16 v82, v82, v64
	v_mul_f16_e32 v114, 0xbb7b, v78
	v_mul_f16_e32 v115, 0xb94e, v78
	v_pack_b32_f16 v78, v68, v78
	v_pk_mul_f16 v85, 0xbbc4b3a8, v85
	v_fmamk_f16 v116, v68, 0x3b15, v77
	v_fma_f16 v77, v68, 0x3b15, -v77
	v_fmamk_f16 v117, v68, 0x388b, v74
	v_fma_f16 v74, v68, 0x388b, -v74
	;; [unrolled: 2-line block ×10, first 2 shown]
	v_pack_b32_f16 v10, v10, v7
	v_mul_f16_e32 v124, 0xba95, v7
	v_mul_f16_e32 v125, 0xbb7b, v7
	;; [unrolled: 1-line block ×5, first 2 shown]
	v_fma_f16 v128, 0x2fb7, v93, v88
	v_fma_f16 v88, v93, 0x2fb7, -v88
	v_fma_f16 v129, 0xbbc4, v93, v89
	v_fma_f16 v89, v93, 0xbbc4, -v89
	;; [unrolled: 2-line block ×5, first 2 shown]
	v_pack_b32_f16 v93, v93, v94
	v_mul_f16_e64 v133, 0xbbf1, v94
	v_mul_f16_e64 v134, 0xb3a8, v94
	;; [unrolled: 1-line block ×4, first 2 shown]
	v_mul_f16_e32 v94, 0xba95, v94
	v_fma_f16 v137, 0xb5ac, v100, v95
	v_fma_f16 v95, v100, 0xb5ac, -v95
	v_fma_f16 v138, 0xb9fd, v100, v96
	v_fma_f16 v96, v100, 0xb9fd, -v96
	;; [unrolled: 2-line block ×5, first 2 shown]
	v_pack_b32_f16 v100, v100, v101
	v_mul_f16_e64 v142, 0xbb7b, v101
	v_mul_f16_e64 v143, 0x394e, v101
	;; [unrolled: 1-line block ×4, first 2 shown]
	v_mul_f16_e32 v101, 0x33a8, v101
	v_fma_f16 v162, v63, 0x3b15, -v79
	v_fmac_f16_e32 v79, 0x3b15, v63
	v_fma_f16 v163, v63, 0x388b, -v112
	v_fmac_f16_e32 v112, 0x388b, v63
	v_fma_f16 v164, v63, 0x2fb7, -v113
	v_add_f16_e32 v2, v2, v3
	v_add_f16_e32 v3, v11, v17
	v_pack_b32_f16 v83, v83, v65
	v_pack_b32_f16 v84, v84, v66
	v_sub_f16_e32 v81, v21, v18
	v_pk_mul_f16 v82, 0x3b153770, v82
	v_fmac_f16_e32 v113, 0x2fb7, v63
	v_fma_f16 v165, v63, 0xb5ac, -v114
	v_fmac_f16_e32 v114, 0xb5ac, v63
	v_fma_f16 v166, v63, 0xb9fd, -v115
	v_fmac_f16_e32 v115, 0xb9fd, v63
	v_pk_fma_f16 v63, 0xb3a8bbc4, v78, v85 neg_lo:[0,1,0] neg_hi:[0,1,0]
	v_pk_fma_f16 v167, 0xb3a8bbc4, v78, v85
	v_pk_fma_f16 v78, 0xb3a8bbc4, v78, v85 neg_lo:[0,0,1] neg_hi:[0,0,1]
	v_fma_f16 v85, v64, 0x388b, -v124
	v_fmac_f16_e32 v124, 0x388b, v64
	v_fma_f16 v168, v64, 0xb5ac, -v125
	v_fmac_f16_e32 v125, 0xb5ac, v64
	;; [unrolled: 2-line block ×5, first 2 shown]
	v_fma_f16 v64, v65, 0x2fb7, -v133
	v_fmac_f16_e64 v133, 0x2fb7, v65
	v_fma_f16 v172, v65, 0xbbc4, -v134
	v_fmac_f16_e64 v134, 0xbbc4, v65
	;; [unrolled: 2-line block ×4, first 2 shown]
	v_fma_f16 v175, v65, 0x388b, -v94
	v_fmac_f16_e32 v94, 0x388b, v65
	v_fma_f16 v65, v66, 0xb5ac, -v142
	v_fmac_f16_e64 v142, 0xb5ac, v66
	v_fma_f16 v176, v66, 0xb9fd, -v143
	v_fmac_f16_e64 v143, 0xb9fd, v66
	;; [unrolled: 2-line block ×4, first 2 shown]
	v_fma_f16 v179, v66, 0xbbc4, -v101
	v_fmac_f16_e32 v101, 0xbbc4, v66
	v_add_f16_e32 v61, v116, v62
	v_add_f16_e32 v66, v77, v62
	;; [unrolled: 1-line block ×7, first 2 shown]
	v_add_f16_e64 v162, v162, v6
	v_add_f16_e32 v79, v79, v6
	v_add_f16_e64 v163, v163, v6
	v_add_f16_e32 v112, v112, v6
	;; [unrolled: 2-line block ×3, first 2 shown]
	v_add_f16_e32 v2, v3, v16
	v_pk_mul_f16 v83, 0xb9fdb94e, v83
	v_pk_mul_f16 v84, 0x388b3a95, v84
	v_mul_f16_e64 v146, 0xb94e, v81
	v_mul_f16_e64 v148, 0x3bf1, v81
	;; [unrolled: 1-line block ×5, first 2 shown]
	v_add_f16_e32 v69, v69, v62
	v_add_f16_e32 v117, v120, v62
	;; [unrolled: 1-line block ×3, first 2 shown]
	v_pk_fma_f16 v68, 0x37703b15, v10, v82 neg_lo:[0,1,0] neg_hi:[0,1,0]
	v_pk_fma_f16 v118, 0x37703b15, v10, v82
	v_pk_fma_f16 v10, 0x37703b15, v10, v82 neg_lo:[0,0,1] neg_hi:[0,0,1]
	v_add_f16_e32 v113, v113, v6
	v_add_f16_e64 v165, v165, v6
	v_add_f16_e32 v114, v114, v6
	v_add_f16_e64 v166, v166, v6
	v_add_f16_e32 v115, v115, v6
	v_pk_add_f16 v63, v63, v6 op_sel:[0,1] op_sel_hi:[1,0]
	v_pk_add_f16 v167, v167, v6 op_sel:[0,1] op_sel_hi:[1,0]
	;; [unrolled: 1-line block ×3, first 2 shown]
	v_add_f16_e32 v22, v72, v61
	v_add_f16_e32 v61, v75, v66
	;; [unrolled: 1-line block ×7, first 2 shown]
	v_add_f16_e64 v74, v85, v162
	v_add_f16_e32 v75, v124, v79
	v_add_f16_e64 v76, v168, v163
	v_add_f16_e32 v77, v125, v112
	;; [unrolled: 2-line block ×3, first 2 shown]
	v_add_f16_e32 v1, v2, v15
	v_add_f16_e32 v80, v18, v21
	v_mul_f16_e32 v102, 0xb94e, v60
	v_mul_f16_e32 v103, 0x3bf1, v60
	;; [unrolled: 1-line block ×3, first 2 shown]
	v_pk_fma_f16 v82, 0xb94eb9fd, v93, v83 neg_lo:[0,1,0] neg_hi:[0,1,0]
	v_pk_fma_f16 v119, 0xb94eb9fd, v93, v83
	v_pk_fma_f16 v83, 0xb94eb9fd, v93, v83 neg_lo:[0,0,1] neg_hi:[0,0,1]
	v_pk_fma_f16 v93, 0x3a95388b, v100, v84 neg_lo:[0,1,0] neg_hi:[0,1,0]
	v_pk_fma_f16 v120, 0x3a95388b, v100, v84
	v_pk_fma_f16 v84, 0x3a95388b, v100, v84 neg_lo:[0,0,1] neg_hi:[0,0,1]
	v_fma_f16 v100, v26, 0xb9fd, -v146
	v_fmac_f16_e64 v146, 0xb9fd, v26
	v_fma_f16 v180, v26, 0x2fb7, -v148
	v_fmac_f16_e64 v148, 0x2fb7, v26
	;; [unrolled: 2-line block ×5, first 2 shown]
	v_add_f16_e32 v69, v70, v69
	v_add_f16_e32 v62, v86, v62
	;; [unrolled: 1-line block ×3, first 2 shown]
	v_add_f16_e64 v85, v170, v165
	v_add_f16_e32 v86, v127, v114
	v_pk_add_f16 v6, v10, v6
	v_add_f16_e64 v10, v128, v22
	v_add_f16_e32 v22, v88, v61
	v_add_f16_e64 v61, v129, v66
	v_add_f16_e32 v66, v89, v67
	;; [unrolled: 2-line block ×4, first 2 shown]
	v_add_f16_e64 v21, v133, v75
	v_add_f16_e64 v64, v172, v76
	;; [unrolled: 1-line block ×4, first 2 shown]
	v_add_f16_e32 v0, v0, v13
	v_add_f16_e32 v1, v1, v14
	v_pack_b32_f16 v26, v60, v26
	v_add_f16_e32 v105, v19, v20
	v_sub_f16_e32 v106, v20, v19
	v_mul_f16_e32 v107, 0x33a8, v60
	v_mul_f16_e32 v110, 0x3770, v25
	v_fma_f16 v147, 0xb9fd, v80, v102
	v_fma_f16 v102, v80, 0xb9fd, -v102
	v_fma_f16 v149, 0x2fb7, v80, v103
	v_fma_f16 v103, v80, 0x2fb7, -v103
	v_fma_f16 v151, 0x388b, v80, v104
	v_add_f16_e32 v7, v7, v115
	v_pk_add_f16 v63, v68, v63
	v_add_f16_e32 v69, v91, v69
	v_add_f16_e64 v74, v135, v79
	v_add_f16_e64 v75, v174, v85
	;; [unrolled: 1-line block ×3, first 2 shown]
	v_pk_add_f16 v6, v83, v6
	v_add_f16_e64 v10, v137, v10
	v_add_f16_e32 v22, v95, v22
	v_add_f16_e32 v66, v96, v66
	v_add_f16_e64 v67, v139, v67
	v_add_f16_e32 v4, v65, v5
	v_add_f16_e64 v5, v142, v21
	v_add_f16_e64 v19, v176, v64
	;; [unrolled: 1-line block ×4, first 2 shown]
	v_and_b32_e32 v0, 0xffff, v0
	v_lshlrev_b32_e32 v1, 16, v1
	v_pack_b32_f16 v72, v80, v81
	v_mul_lo_u16 v73, v12, 13
	v_pk_mul_f16 v26, 0xb5acbb7b, v26
	v_mul_f16_e32 v108, 0x3770, v60
	v_fma_f16 v153, 0xbbc4, v80, v107
	v_fma_f16 v107, v80, 0xbbc4, -v107
	v_mul_f16_e64 v156, 0xb3a8, v106
	v_mul_f16_e64 v158, 0x3770, v106
	v_fma_f16 v159, 0x3b15, v105, v110
	v_fma_f16 v110, v105, 0x3b15, -v110
	v_mul_f16_e64 v160, 0xb94e, v106
	v_add_f16_e32 v7, v94, v7
	v_pk_add_f16 v63, v82, v63
	v_add_f16_e32 v69, v98, v69
	v_add_f16_e64 v64, v144, v74
	v_add_f16_e64 v11, v178, v75
	;; [unrolled: 1-line block ×3, first 2 shown]
	v_pk_add_f16 v2, v84, v6
	v_add_f16_e64 v6, v147, v10
	v_add_f16_e32 v10, v102, v22
	v_add_f16_e32 v14, v103, v66
	v_add_f16_e64 v15, v180, v19
	v_add_f16_e64 v19, v181, v21
	v_or_b32_e32 v0, v1, v0
	v_mul_f16_e32 v1, 0x3a95, v106
	v_add_f16_e64 v21, v151, v67
	v_mul_f16_e32 v22, 0x3a95, v25
	v_mul_f16_e32 v67, 0xbb7b, v106
	v_and_b32_e32 v60, 0xffff, v73
	v_pk_fma_f16 v73, 0xbb7bb5ac, v72, v26 neg_lo:[0,1,0] neg_hi:[0,1,0]
	v_pk_fma_f16 v75, 0xbb7bb5ac, v72, v26
	v_pk_fma_f16 v26, 0xbb7bb5ac, v72, v26 neg_lo:[0,0,1] neg_hi:[0,0,1]
	v_mul_f16_e32 v111, 0xb94e, v25
	v_fma_f16 v184, v23, 0xbbc4, -v156
	v_fmac_f16_e64 v156, 0xbbc4, v23
	v_fma_f16 v9, v23, 0x3b15, -v158
	v_fmac_f16_e64 v158, 0x3b15, v23
	;; [unrolled: 2-line block ×3, first 2 shown]
	v_add_f16_e64 v61, v138, v61
	v_add_f16_e64 v20, v140, v71
	v_add_f16_e32 v3, v101, v7
	v_pk_add_f16 v7, v93, v63
	v_add_f16_e64 v63, v150, v64
	v_fma_f16 v64, v23, 0x388b, -v1
	v_fmamk_f16 v66, v105, 0x388b, v22
	v_fmac_f16_e32 v1, 0x388b, v23
	v_fma_f16 v22, v105, 0x388b, -v22
	v_add_f16_e64 v17, v152, v17
	v_fma_f16 v71, v23, 0xb5ac, -v67
	v_fmac_f16_e32 v67, 0xb5ac, v23
	v_add_f16_e32 v69, v107, v69
	v_pk_add_f16 v2, v26, v2
	v_add_f16_e32 v26, v110, v14
	v_pack_b32_f16 v14, v25, v23
	v_and_b32_e32 v23, 0xff, v12
	v_add_f16_e32 v70, v123, v117
	v_add_f16_e64 v87, v171, v166
	v_pk_add_f16 v68, v118, v167
	v_fma_f16 v161, 0xb9fd, v105, v111
	v_add_f16_e64 v13, v149, v61
	v_add_f16_e64 v11, v182, v11
	v_add_f16_e32 v1, v1, v17
	v_add_f16_e32 v17, v22, v69
	v_pack_b32_f16 v22, v105, v106
	v_pk_mul_f16 v14, 0x2fb73bf1, v14
	v_mul_lo_u16 v23, 0x4f, v23
	v_add_f16_e64 v70, v132, v70
	v_add_f16_e64 v77, v175, v87
	v_pk_add_f16 v68, v119, v68
	v_mul_f16_e32 v109, 0xb3a8, v25
	v_add_f16_e32 v9, v9, v15
	v_add_f16_e64 v13, v159, v13
	v_add_f16_e64 v15, v185, v19
	;; [unrolled: 1-line block ×4, first 2 shown]
	v_add_f16_e32 v11, v64, v11
	v_pk_fma_f16 v63, 0x3bf12fb7, v22, v14 neg_lo:[0,1,0] neg_hi:[0,1,0]
	v_pk_fma_f16 v64, 0x3bf12fb7, v22, v14
	v_pk_fma_f16 v22, 0x3bf12fb7, v22, v14 neg_lo:[0,0,1] neg_hi:[0,0,1]
	v_lshrrev_b16 v14, 10, v23
	v_fma_f16 v104, v80, 0x388b, -v104
	v_fma_f16 v155, 0x3b15, v80, v108
	v_add_f16_e32 v8, v97, v8
	v_add_f16_e64 v70, v141, v70
	v_add_f16_e64 v65, v179, v77
	v_pk_add_f16 v16, v120, v68
	v_mul_f16_e32 v68, 0xbb7b, v25
	v_add_f16_e32 v62, v92, v62
	v_fma_f16 v157, 0xbbc4, v105, v109
	v_add_f16_e32 v4, v100, v4
	v_add_f16_e64 v20, v153, v20
	v_pack_b32_f16 v9, v9, v13
	v_mul_lo_u16 v13, v14, 13
	v_fma_f16 v61, v105, 0xb9fd, -v111
	v_add_f16_e32 v8, v104, v8
	v_fmamk_f16 v74, v105, 0xb5ac, v68
	v_add_f16_e64 v65, v183, v65
	v_add_f16_e64 v70, v155, v70
	v_fma_f16 v108, v80, 0x3b15, -v108
	v_add_f16_e32 v62, v99, v62
	v_fma_f16 v109, v105, 0xbbc4, -v109
	v_add_f16_e64 v5, v146, v5
	v_add_f16_e64 v4, v184, v4
	;; [unrolled: 1-line block ×3, first 2 shown]
	v_add_f16_e32 v20, v66, v20
	v_sub_nc_u16 v12, v12, v13
	v_pk_add_f16 v7, v73, v7
	v_pk_add_f16 v16, v75, v16
	v_add_f16_e32 v8, v61, v8
	v_add_f16_e32 v25, v71, v65
	;; [unrolled: 1-line block ×3, first 2 shown]
	v_fma_f16 v68, v105, 0xb5ac, -v68
	v_add_f16_e64 v3, v154, v3
	v_add_f16_e32 v62, v108, v62
	v_add_f16_e64 v18, v148, v18
	v_add_f16_e64 v5, v156, v5
	v_add_f16_e32 v10, v109, v10
	v_pack_b32_f16 v4, v4, v6
	v_pack_b32_f16 v6, v11, v20
	;; [unrolled: 1-line block ×3, first 2 shown]
	v_and_b32_e32 v15, 0xff, v12
	v_lshlrev_b32_e32 v60, 2, v60
	v_pk_add_f16 v7, v63, v7
	v_pk_add_f16 v16, v64, v16
	;; [unrolled: 1-line block ×3, first 2 shown]
	v_pack_b32_f16 v22, v25, v61
	v_add_f16_e32 v3, v67, v3
	v_add_f16_e32 v62, v68, v62
	v_add_f16_e64 v18, v158, v18
	v_pack_b32_f16 v5, v5, v10
	v_mul_u32_u24_e32 v10, 12, v15
	ds_store_2addr_b32 v60, v0, v22 offset1:5
	v_alignbit_b32 v0, v2, v16, 16
	v_alignbit_b32 v2, v16, v7, 16
	v_pack_b32_f16 v1, v1, v17
	v_pack_b32_f16 v3, v3, v62
	;; [unrolled: 1-line block ×4, first 2 shown]
	ds_store_2addr_b32 v60, v4, v9 offset0:1 offset1:2
	ds_store_2addr_b32 v60, v11, v6 offset0:3 offset1:4
	;; [unrolled: 1-line block ×5, first 2 shown]
	ds_store_b32 v60, v5 offset:48
	v_lshlrev_b32_e32 v0, 2, v10
	global_wb scope:SCOPE_SE
	s_wait_dscnt 0x0
	s_barrier_signal -1
	s_barrier_wait -1
	global_inv scope:SCOPE_SE
	s_clause 0x2
	global_load_b128 v[8:11], v0, s[10:11]
	global_load_b128 v[4:7], v0, s[10:11] offset:16
	global_load_b128 v[0:3], v0, s[10:11] offset:32
	ds_load_2addr_b32 v[18:19], v56 offset0:82 offset1:251
	ds_load_2addr_b32 v[22:23], v51 offset0:36 offset1:205
	;; [unrolled: 1-line block ×5, first 2 shown]
	ds_load_2addr_b32 v[12:13], v28 offset1:169
	ds_load_b32 v63, v28 offset:8112
	v_and_b32_e32 v14, 0xffff, v14
	global_wb scope:SCOPE_SE
	s_wait_loadcnt_dscnt 0x0
	s_barrier_signal -1
	s_barrier_wait -1
	global_inv scope:SCOPE_SE
	v_mul_u32_u24_e32 v14, 0xa9, v14
	v_lshrrev_b32_e32 v78, 16, v18
	v_lshrrev_b32_e32 v79, 16, v19
	;; [unrolled: 1-line block ×25, first 2 shown]
	v_mul_f16_e32 v107, v13, v73
	v_mul_f16_e32 v108, v63, v62
	;; [unrolled: 1-line block ×19, first 2 shown]
	v_fmac_f16_e32 v107, v88, v8
	v_fmac_f16_e32 v108, v89, v3
	v_fma_f16 v13, v13, v8, -v109
	v_mul_f16_e32 v96, v22, v70
	v_mul_f16_e32 v16, v25, v68
	;; [unrolled: 1-line block ×5, first 2 shown]
	v_fma_f16 v91, v18, v9, -v91
	v_fma_f16 v93, v19, v10, -v93
	;; [unrolled: 1-line block ×10, first 2 shown]
	v_fmac_f16_e32 v92, v78, v9
	v_fmac_f16_e32 v94, v79, v10
	;; [unrolled: 1-line block ×3, first 2 shown]
	v_fma_f16 v63, v63, v3, -v110
	v_fmac_f16_e32 v105, v86, v1
	v_fmac_f16_e32 v106, v87, v2
	v_sub_f16_e32 v75, v107, v108
	v_add_f16_e32 v77, v13, v12
	v_add_f16_e32 v81, v107, v90
	v_fmac_f16_e32 v16, v82, v5
	v_fmac_f16_e32 v21, v84, v7
	v_add_f16_e32 v76, v13, v63
	v_sub_f16_e32 v13, v13, v63
	v_sub_f16_e32 v79, v92, v106
	;; [unrolled: 1-line block ×5, first 2 shown]
	v_mul_f16_e32 v88, 0xb770, v75
	v_mul_f16_e32 v89, 0xba95, v75
	;; [unrolled: 1-line block ×6, first 2 shown]
	v_add_f16_e32 v77, v77, v91
	v_add_f16_e32 v81, v81, v92
	v_fmac_f16_e32 v96, v80, v11
	v_fmac_f16_e32 v17, v83, v6
	;; [unrolled: 1-line block ×3, first 2 shown]
	v_add_f16_e32 v78, v107, v108
	v_add_f16_e32 v80, v91, v74
	;; [unrolled: 1-line block ×5, first 2 shown]
	v_mul_f16_e32 v100, 0xb770, v13
	v_mul_f16_e32 v101, 0xba95, v13
	;; [unrolled: 1-line block ×30, first 2 shown]
	v_fma_f16 v127, v76, 0x3b15, -v88
	v_fmac_f16_e32 v88, 0x3b15, v76
	v_fma_f16 v128, v76, 0x388b, -v89
	v_fmac_f16_e32 v89, 0x388b, v76
	;; [unrolled: 2-line block ×6, first 2 shown]
	v_add_f16_e32 v77, v77, v93
	v_add_f16_e32 v81, v81, v94
	v_fmamk_f16 v76, v78, 0x3b15, v100
	v_fma_f16 v100, v78, 0x3b15, -v100
	v_fma_f16 v133, 0x388b, v78, v101
	v_fma_f16 v101, v78, 0x388b, -v101
	v_fma_f16 v134, 0x2fb7, v78, v103
	;; [unrolled: 2-line block ×5, first 2 shown]
	v_fma_f16 v13, v78, 0xbbc4, -v13
	v_fma_f16 v78, v80, 0x388b, -v109
	v_fmac_f16_e32 v109, 0x388b, v80
	v_fma_f16 v138, v80, 0xb5ac, -v110
	v_fmac_f16_e32 v110, 0xb5ac, v80
	;; [unrolled: 2-line block ×6, first 2 shown]
	v_fmamk_f16 v80, v83, 0x388b, v91
	v_fma_f16 v91, v83, 0x388b, -v91
	v_fma_f16 v143, 0xb5ac, v83, v92
	v_fma_f16 v92, v83, 0xb5ac, -v92
	v_fma_f16 v144, 0xbbc4, v83, v114
	;; [unrolled: 2-line block ×5, first 2 shown]
	v_fma_f16 v82, v83, 0x3b15, -v82
	v_fma_f16 v83, v85, 0x2fb7, -v117
	v_fmamk_f16 v93, v87, 0x2fb7, v118
	v_fmac_f16_e32 v117, 0x2fb7, v85
	v_fma_f16 v94, v87, 0x2fb7, -v118
	v_fma_f16 v118, v85, 0xbbc4, -v119
	v_fma_f16 v148, 0xbbc4, v87, v120
	v_fmac_f16_e32 v119, 0xbbc4, v85
	v_fma_f16 v120, v87, 0xbbc4, -v120
	v_fma_f16 v149, v85, 0xb5ac, -v121
	v_fma_f16 v150, 0xb5ac, v87, v122
	;; [unrolled: 4-line block ×3, first 2 shown]
	v_fmac_f16_e32 v123, 0x3b15, v85
	v_fma_f16 v153, v85, 0x388b, -v125
	v_fmac_f16_e32 v125, 0x388b, v85
	v_fma_f16 v154, v85, 0xb9fd, -v84
	;; [unrolled: 2-line block ×3, first 2 shown]
	v_fmamk_f16 v124, v87, 0x388b, v126
	v_fma_f16 v126, v87, 0x388b, -v126
	v_fma_f16 v155, 0xb9fd, v87, v86
	v_fma_f16 v86, v87, 0xb9fd, -v86
	v_add_f16_e32 v87, v127, v12
	v_add_f16_e32 v88, v88, v12
	v_add_f16_e64 v127, v128, v12
	v_add_f16_e32 v89, v89, v12
	v_add_f16_e64 v128, v129, v12
	;; [unrolled: 2-line block ×5, first 2 shown]
	v_add_f16_e32 v12, v75, v12
	v_add_f16_e32 v77, v77, v95
	;; [unrolled: 1-line block ×4, first 2 shown]
	v_add_f16_e64 v132, v134, v90
	v_add_f16_e32 v12, v79, v12
	v_add_f16_e32 v77, v77, v22
	;; [unrolled: 1-line block ×5, first 2 shown]
	v_add_f16_e64 v100, v133, v90
	v_add_f16_e32 v77, v77, v18
	v_add_f16_e32 v79, v79, v16
	;; [unrolled: 1-line block ×3, first 2 shown]
	v_add_f16_e64 v133, v135, v90
	v_add_f16_e32 v104, v104, v90
	v_add_f16_e32 v77, v77, v19
	v_add_f16_e32 v79, v79, v17
	v_add_f16_e64 v134, v136, v90
	v_add_f16_e32 v107, v107, v90
	v_add_f16_e64 v135, v137, v90
	v_add_f16_e32 v77, v77, v23
	v_add_f16_e32 v79, v79, v21
	;; [unrolled: 1-line block ×8, first 2 shown]
	v_add_f16_e64 v92, v144, v132
	v_add_f16_e64 v101, v140, v129
	v_add_f16_e32 v26, v77, v26
	v_add_f16_e32 v77, v79, v105
	v_add_f16_e32 v78, v83, v78
	v_add_f16_e32 v83, v119, v89
	v_add_f16_e64 v89, v150, v92
	v_add_f16_e32 v26, v26, v74
	v_add_f16_e32 v74, v77, v106
	v_add_f16_e64 v92, v151, v101
	v_add_f16_e32 v101, v95, v25
	v_sub_f16_e32 v25, v95, v25
	v_add_f16_e32 v26, v26, v63
	v_add_f16_e32 v63, v74, v108
	;; [unrolled: 1-line block ×3, first 2 shown]
	v_sub_f16_e32 v74, v96, v102
	v_add_f16_e32 v96, v96, v102
	v_and_b32_e32 v26, 0xffff, v26
	v_lshlrev_b32_e32 v63, 16, v63
	v_mul_f16_e32 v102, 0xbb7b, v25
	v_add_f16_e32 v80, v109, v88
	v_add_f16_e32 v76, v91, v76
	v_add_f16_e64 v88, v143, v100
	v_add_f16_e32 v100, v114, v103
	v_add_f16_e64 v103, v145, v133
	v_add_f16_e32 v13, v82, v13
	v_add_f16_e32 v75, v93, v75
	v_mul_f16_e32 v95, 0xbb7b, v74
	v_or_b32_e32 v26, v63, v26
	v_fmamk_f16 v63, v96, 0xb5ac, v102
	v_add_f16_e64 v87, v138, v127
	v_add_f16_e32 v80, v117, v80
	v_add_f16_e32 v76, v94, v76
	v_add_f16_e64 v93, v152, v103
	v_fma_f16 v103, v101, 0xb5ac, -v95
	v_add_f16_e32 v12, v84, v12
	v_add_f16_e32 v13, v86, v13
	v_mul_f16_e32 v84, 0x394e, v74
	v_fmac_f16_e32 v95, 0xb5ac, v101
	v_fma_f16 v86, v96, 0xb5ac, -v102
	v_add_f16_e32 v63, v63, v75
	v_mul_f16_e32 v75, 0x394e, v25
	v_add_f16_e64 v91, v139, v128
	v_add_f16_e32 v81, v118, v87
	v_add_f16_e64 v82, v148, v88
	v_add_f16_e32 v87, v120, v90
	v_fma_f16 v102, v101, 0xb9fd, -v84
	v_add_f16_e32 v80, v95, v80
	v_add_f16_e32 v76, v86, v76
	v_mul_f16_e32 v86, 0x3770, v74
	v_fmamk_f16 v95, v96, 0xb9fd, v75
	v_fma_f16 v75, v96, 0xb9fd, -v75
	v_add_f16_e64 v88, v149, v91
	v_add_f16_e32 v81, v102, v81
	v_fmac_f16_e32 v84, 0xb9fd, v101
	v_fma_f16 v102, v101, 0x3b15, -v86
	v_add_f16_e32 v82, v95, v82
	v_mul_f16_e32 v95, 0x3770, v25
	v_add_f16_e32 v75, v75, v87
	v_mul_f16_e32 v87, 0xbbf1, v74
	v_add_f16_e32 v97, v111, v97
	v_add_f16_e32 v98, v112, v98
	;; [unrolled: 1-line block ×6, first 2 shown]
	v_fmamk_f16 v88, v96, 0x3b15, v95
	v_fma_f16 v95, v96, 0x3b15, -v95
	v_fma_f16 v103, v101, 0x2fb7, -v87
	v_add_f16_e64 v109, v141, v130
	v_add_f16_e32 v99, v113, v99
	v_add_f16_e32 v90, v121, v97
	v_add_f16_e32 v79, v123, v98
	v_fmac_f16_e32 v86, 0x3b15, v101
	v_mul_f16_e32 v102, 0xbbf1, v25
	v_add_f16_e32 v88, v88, v89
	v_add_f16_e32 v89, v95, v91
	;; [unrolled: 1-line block ×3, first 2 shown]
	v_fmac_f16_e32 v87, 0x2fb7, v101
	v_mul_f16_e32 v92, 0x33a8, v74
	v_add_f16_e64 v94, v153, v109
	v_add_f16_e32 v97, v125, v99
	v_add_f16_e32 v86, v86, v90
	v_fmamk_f16 v90, v96, 0x2fb7, v102
	v_mul_f16_e32 v95, 0x33a8, v25
	v_add_f16_e32 v79, v87, v79
	v_fma_f16 v87, v101, 0xbbc4, -v92
	v_fmac_f16_e32 v92, 0xbbc4, v101
	v_mul_f16_e32 v25, 0x3a95, v25
	v_add_f16_e32 v104, v115, v104
	v_add_f16_e32 v107, v116, v107
	;; [unrolled: 1-line block ×3, first 2 shown]
	v_fma_f16 v93, v96, 0x2fb7, -v102
	v_fmamk_f16 v102, v96, 0xbbc4, v95
	v_add_f16_e32 v87, v87, v94
	v_add_f16_e32 v92, v92, v97
	v_fma_f16 v94, v96, 0xbbc4, -v95
	v_sub_f16_e32 v95, v20, v21
	v_fmamk_f16 v97, v96, 0x388b, v25
	v_fma_f16 v25, v96, 0x388b, -v25
	v_add_f16_e32 v96, v22, v23
	v_sub_f16_e32 v22, v22, v23
	v_add_f16_e32 v85, v85, v104
	v_add_f16_e32 v98, v126, v107
	v_mul_f16_e32 v74, 0x3a95, v74
	v_mul_f16_e32 v23, 0xb94e, v95
	v_add_f16_e32 v20, v20, v21
	v_mul_f16_e32 v21, 0xb94e, v22
	v_add_f16_e32 v85, v93, v85
	v_fma_f16 v93, v101, 0x388b, -v74
	v_fmac_f16_e32 v74, 0x388b, v101
	v_add_f16_e32 v94, v94, v98
	v_fma_f16 v98, v96, 0xb9fd, -v23
	v_add_f16_e32 v13, v25, v13
	v_fmamk_f16 v25, v20, 0xb9fd, v21
	v_add_f16_e32 v12, v74, v12
	v_fmac_f16_e32 v23, 0xb9fd, v96
	v_add_f16_e32 v74, v98, v78
	v_mul_f16_e32 v78, 0x3bf1, v95
	v_fma_f16 v21, v20, 0xb9fd, -v21
	v_add_f16_e32 v25, v25, v63
	v_mul_f16_e32 v63, 0x3bf1, v22
	v_add_f16_e32 v23, v23, v80
	v_fma_f16 v98, v96, 0x2fb7, -v78
	v_add_f16_e32 v21, v21, v76
	v_mul_f16_e32 v76, 0xba95, v95
	v_fmamk_f16 v80, v20, 0x2fb7, v63
	v_add_f16_e64 v111, v142, v131
	v_add_f16_e32 v81, v98, v81
	v_fmac_f16_e32 v78, 0x2fb7, v96
	v_fma_f16 v63, v20, 0x2fb7, -v63
	v_fma_f16 v98, v96, 0x388b, -v76
	v_add_f16_e32 v80, v80, v82
	v_mul_f16_e32 v82, 0xba95, v22
	v_add_f16_e64 v99, v154, v111
	v_add_f16_e32 v78, v78, v83
	v_add_f16_e32 v63, v63, v75
	;; [unrolled: 1-line block ×3, first 2 shown]
	v_mul_f16_e32 v83, 0x33a8, v95
	v_fmamk_f16 v84, v20, 0x388b, v82
	v_fmac_f16_e32 v76, 0x388b, v96
	v_fma_f16 v82, v20, 0x388b, -v82
	v_mul_f16_e32 v98, 0x33a8, v22
	v_add_f16_e32 v93, v93, v99
	v_fma_f16 v99, v96, 0xbbc4, -v83
	v_add_f16_e32 v76, v76, v86
	v_add_f16_e32 v82, v82, v89
	v_fmamk_f16 v86, v20, 0xbbc4, v98
	v_fmac_f16_e32 v83, 0xbbc4, v96
	v_mul_f16_e32 v89, 0x3770, v95
	v_add_f16_e32 v84, v84, v88
	v_add_f16_e32 v88, v99, v91
	v_mul_f16_e32 v91, 0x3770, v22
	v_add_f16_e32 v86, v86, v90
	v_fma_f16 v90, v20, 0xbbc4, -v98
	v_add_f16_e32 v79, v83, v79
	v_fma_f16 v83, v96, 0x3b15, -v89
	v_fmac_f16_e32 v89, 0x3b15, v96
	v_add_f16_e64 v112, v147, v135
	v_fmamk_f16 v98, v20, 0x3b15, v91
	v_add_f16_e32 v85, v90, v85
	v_mul_f16_e32 v90, 0xbb7b, v95
	v_add_f16_e32 v83, v83, v87
	v_add_f16_e32 v87, v89, v92
	v_mul_f16_e32 v22, 0xbb7b, v22
	v_fma_f16 v91, v20, 0x3b15, -v91
	v_sub_f16_e32 v92, v16, v17
	v_add_f16_e64 v100, v155, v112
	v_fma_f16 v89, v96, 0xb5ac, -v90
	v_fmamk_f16 v95, v20, 0xb5ac, v22
	v_fma_f16 v20, v20, 0xb5ac, -v22
	v_add_f16_e32 v22, v91, v94
	v_add_f16_e32 v91, v18, v19
	v_mul_f16_e32 v94, 0xb3a8, v92
	v_sub_f16_e32 v18, v18, v19
	v_add_f16_e32 v97, v97, v100
	v_fmac_f16_e32 v90, 0xb5ac, v96
	v_add_f16_e32 v19, v89, v93
	v_add_f16_e32 v16, v16, v17
	v_fma_f16 v17, v91, 0xbbc4, -v94
	v_mul_f16_e32 v93, 0xb3a8, v18
	v_add_f16_e32 v13, v20, v13
	v_mul_f16_e32 v20, 0x3770, v92
	v_add_f16_e32 v89, v95, v97
	v_add_f16_e32 v12, v90, v12
	v_add_f16_e32 v17, v17, v74
	v_fmamk_f16 v74, v16, 0xbbc4, v93
	v_fmac_f16_e32 v94, 0xbbc4, v91
	v_fma_f16 v90, v16, 0xbbc4, -v93
	v_fma_f16 v93, v91, 0x3b15, -v20
	v_mul_f16_e32 v95, 0x3770, v18
	v_add_f16_e32 v25, v74, v25
	v_add_f16_e32 v23, v94, v23
	;; [unrolled: 1-line block ×4, first 2 shown]
	v_fmamk_f16 v81, v16, 0x3b15, v95
	v_mul_f16_e32 v90, 0xb94e, v92
	v_fmac_f16_e32 v20, 0x3b15, v91
	v_fma_f16 v93, v16, 0x3b15, -v95
	v_mul_f16_e32 v94, 0xb94e, v18
	v_add_f16_e64 v110, v146, v134
	v_add_f16_e32 v80, v81, v80
	v_fma_f16 v81, v91, 0xb9fd, -v90
	v_add_f16_e32 v20, v20, v78
	v_add_f16_e32 v78, v93, v63
	v_fmamk_f16 v63, v16, 0xb9fd, v94
	v_mul_f16_e32 v93, 0x3a95, v92
	v_add_f16_e32 v77, v124, v110
	v_add_f16_e32 v75, v81, v75
	v_fma_f16 v81, v16, 0xb9fd, -v94
	v_add_f16_e32 v84, v63, v84
	v_fma_f16 v63, v91, 0x388b, -v93
	v_mul_f16_e32 v94, 0x3a95, v18
	v_add_f16_e32 v77, v102, v77
	v_fmac_f16_e32 v90, 0xb9fd, v91
	v_add_f16_e32 v81, v81, v82
	v_mul_f16_e32 v82, 0xbb7b, v92
	v_add_f16_e32 v88, v63, v88
	v_fmamk_f16 v63, v16, 0x388b, v94
	v_mul_f16_e32 v95, 0xbb7b, v18
	v_add_f16_e32 v77, v98, v77
	v_add_f16_e32 v76, v90, v76
	v_fma_f16 v90, v16, 0x388b, -v94
	v_fma_f16 v94, v91, 0xb5ac, -v82
	v_add_f16_e32 v86, v63, v86
	v_fmamk_f16 v63, v16, 0xb5ac, v95
	v_fmac_f16_e32 v82, 0xb5ac, v91
	v_mul_f16_e32 v92, 0x3bf1, v92
	v_mul_f16_e32 v18, 0x3bf1, v18
	v_add_f16_e32 v85, v90, v85
	v_fma_f16 v90, v16, 0xb5ac, -v95
	v_add_f16_e32 v77, v63, v77
	v_add_f16_e32 v82, v82, v87
	v_fma_f16 v63, v91, 0x2fb7, -v92
	v_fmamk_f16 v87, v16, 0x2fb7, v18
	v_fmac_f16_e32 v92, 0x2fb7, v91
	v_fma_f16 v16, v16, 0x2fb7, -v18
	v_add_f16_e32 v83, v94, v83
	v_fmac_f16_e32 v93, 0x388b, v91
	v_add_f16_e32 v18, v63, v19
	v_add_f16_e32 v19, v87, v89
	;; [unrolled: 1-line block ×4, first 2 shown]
	v_add_lshl_u32 v63, v14, v15, 2
	v_pack_b32_f16 v14, v17, v25
	v_pack_b32_f16 v15, v74, v80
	;; [unrolled: 1-line block ×5, first 2 shown]
	v_add_f16_e32 v79, v93, v79
	v_add_f16_e32 v22, v90, v22
	v_pack_b32_f16 v18, v18, v19
	v_pack_b32_f16 v12, v12, v13
	ds_store_2addr_b32 v63, v26, v14 offset1:13
	ds_store_2addr_b32 v63, v15, v16 offset0:26 offset1:39
	ds_store_2addr_b32 v63, v17, v25 offset0:52 offset1:65
	;; [unrolled: 1-line block ×3, first 2 shown]
	v_pack_b32_f16 v15, v20, v78
	v_pack_b32_f16 v16, v23, v21
	v_mad_co_u64_u32 v[20:21], null, v50, 48, s[10:11]
	v_pack_b32_f16 v12, v82, v22
	v_pack_b32_f16 v13, v79, v85
	;; [unrolled: 1-line block ×3, first 2 shown]
	ds_store_2addr_b32 v63, v12, v13 offset0:104 offset1:117
	ds_store_2addr_b32 v63, v14, v15 offset0:130 offset1:143
	ds_store_b32 v63, v16 offset:624
	global_wb scope:SCOPE_SE
	s_wait_dscnt 0x0
	s_barrier_signal -1
	s_barrier_wait -1
	global_inv scope:SCOPE_SE
	s_clause 0x2
	global_load_b128 v[16:19], v[20:21], off offset:624
	global_load_b128 v[12:15], v[20:21], off offset:640
	;; [unrolled: 1-line block ×3, first 2 shown]
	ds_load_2addr_b32 v[87:88], v56 offset0:82 offset1:251
	ds_load_2addr_b32 v[89:90], v51 offset0:36 offset1:205
	;; [unrolled: 1-line block ×5, first 2 shown]
	ds_load_b32 v97, v28 offset:8112
	ds_load_2addr_b32 v[25:26], v28 offset1:169
	s_load_b64 s[10:11], s[0:1], 0x38
	s_wait_dscnt 0x6
	v_lshrrev_b32_e32 v98, 16, v87
	v_lshrrev_b32_e32 v99, 16, v88
	s_wait_dscnt 0x4
	v_lshrrev_b32_e32 v103, 16, v92
	v_lshrrev_b32_e32 v100, 16, v89
	s_wait_dscnt 0x2
	v_lshrrev_b32_e32 v106, 16, v95
	s_wait_dscnt 0x1
	v_lshrrev_b32_e32 v108, 16, v97
	s_wait_dscnt 0x0
	v_lshrrev_b32_e32 v109, 16, v26
	v_lshrrev_b32_e32 v101, 16, v90
	;; [unrolled: 1-line block ×7, first 2 shown]
	s_wait_loadcnt 0x2
	v_lshrrev_b32_e32 v84, 16, v17
	v_lshrrev_b32_e32 v85, 16, v16
	s_wait_loadcnt 0x1
	v_lshrrev_b32_e32 v79, 16, v14
	v_lshrrev_b32_e32 v83, 16, v18
	;; [unrolled: 1-line block ×3, first 2 shown]
	v_mul_f16_e32 v110, v98, v84
	v_mul_f16_e64 v133, v109, v85
	s_wait_loadcnt 0x0
	v_lshrrev_b32_e32 v77, 16, v20
	v_lshrrev_b32_e32 v76, 16, v21
	;; [unrolled: 1-line block ×4, first 2 shown]
	v_mul_f16_e32 v112, v87, v84
	v_mul_f16_e32 v121, v92, v79
	v_mul_f16_e64 v132, v26, v85
	v_fma_f16 v110, v87, v17, -v110
	v_fma_f16 v87, v26, v16, -v133
	v_lshrrev_b32_e32 v82, 16, v19
	v_lshrrev_b32_e32 v81, 16, v12
	v_mul_f16_e32 v111, v99, v83
	v_mul_f16_e32 v119, v103, v79
	;; [unrolled: 1-line block ×5, first 2 shown]
	v_mul_f16_e64 v129, v96, v75
	v_mul_f16_e64 v130, v108, v74
	v_fmac_f16_e32 v121, v103, v14
	v_fmac_f16_e64 v132, v109, v16
	v_add_f16_e32 v103, v87, v25
	v_lshrrev_b32_e32 v80, 16, v13
	v_mul_f16_e32 v113, v100, v82
	v_mul_f16_e32 v114, v101, v81
	;; [unrolled: 1-line block ×6, first 2 shown]
	v_mul_f16_e64 v128, v95, v76
	v_mul_f16_e64 v131, v97, v74
	v_fma_f16 v134, v88, v18, -v111
	v_fma_f16 v126, v95, v21, -v126
	v_fmac_f16_e32 v112, v98, v17
	v_fmac_f16_e32 v124, v104, v15
	v_fma_f16 v104, v97, v23, -v130
	v_fmac_f16_e32 v125, v105, v20
	v_fmac_f16_e64 v129, v107, v22
	v_add_f16_e64 v105, v132, v86
	v_add_f16_e64 v136, v103, v110
	v_mul_f16_e32 v116, v89, v82
	v_mul_f16_e32 v120, v91, v80
	v_fma_f16 v113, v89, v19, -v113
	v_fma_f16 v114, v90, v12, -v114
	;; [unrolled: 1-line block ×4, first 2 shown]
	v_fmac_f16_e32 v115, v99, v18
	v_fmac_f16_e32 v117, v101, v12
	v_fmac_f16_e64 v131, v108, v23
	v_fmac_f16_e64 v128, v106, v21
	v_add_f16_e32 v106, v87, v104
	v_sub_f16_e64 v88, v112, v129
	v_sub_f16_e32 v93, v87, v104
	v_add_f16_e64 v87, v112, v129
	v_add_f16_e64 v90, v134, v126
	v_sub_f16_e64 v101, v134, v126
	v_add_f16_e32 v112, v105, v112
	v_add_f16_e64 v134, v136, v134
	v_mul_f16_e32 v118, v102, v80
	v_fmac_f16_e32 v116, v100, v19
	v_fmac_f16_e32 v120, v102, v13
	v_sub_f16_e64 v102, v132, v131
	v_add_f16_e32 v94, v113, v123
	v_sub_f16_e32 v95, v113, v123
	v_add_f16_e32 v112, v112, v115
	v_add_f16_e64 v113, v134, v113
	v_mul_f16_e32 v127, v107, v75
	v_fma_f16 v118, v91, v13, -v118
	v_mul_f16_e32 v107, 0xb770, v102
	v_add_f16_e32 v112, v112, v116
	v_add_f16_e32 v113, v113, v114
	v_fma_f16 v119, v92, v14, -v119
	v_mul_f16_e32 v108, 0xba95, v102
	v_fma_f16 v139, v106, 0x3b15, -v107
	v_fmac_f16_e32 v107, 0x3b15, v106
	v_add_f16_e32 v112, v112, v117
	v_add_f16_e32 v113, v113, v118
	v_fma_f16 v140, v106, 0x388b, -v108
	v_fmac_f16_e32 v108, 0x388b, v106
	v_add_f16_e64 v146, v107, v25
	v_add_f16_e32 v107, v112, v120
	v_add_f16_e32 v112, v113, v119
	v_fma_f16 v127, v96, v22, -v127
	v_add_f16_e64 v113, v140, v25
	v_add_f16_e64 v140, v108, v25
	;; [unrolled: 1-line block ×3, first 2 shown]
	v_add_f16_e32 v108, v112, v122
	v_add_f16_e32 v26, v110, v127
	v_sub_f16_e32 v89, v110, v127
	v_sub_f16_e64 v91, v115, v128
	v_mul_f16_e32 v109, 0xbbf1, v102
	v_mul_f16_e64 v130, 0xbb7b, v102
	v_mul_f16_e64 v132, 0xb94e, v102
	;; [unrolled: 1-line block ×5, first 2 shown]
	v_add_f16_e32 v107, v107, v121
	v_add_f16_e32 v108, v108, v123
	v_sub_f16_e32 v97, v116, v125
	v_add_f16_e64 v99, v115, v128
	v_mul_f16_e64 v138, 0xba95, v89
	v_mul_f16_e32 v110, 0xbbf1, v91
	v_fma_f16 v141, v106, 0x2fb7, -v109
	v_fmac_f16_e32 v109, 0x2fb7, v106
	v_fma_f16 v142, v106, 0xb5ac, -v130
	v_fmac_f16_e64 v130, 0xb5ac, v106
	v_fma_f16 v136, v106, 0xb9fd, -v132
	v_fmac_f16_e64 v132, 0xb9fd, v106
	;; [unrolled: 2-line block ×3, first 2 shown]
	v_fma_f16 v106, v26, 0x388b, -v135
	v_fma_f16 v115, 0x3b15, v92, v137
	v_add_f16_e64 v139, v139, v25
	v_add_f16_e32 v107, v107, v124
	v_add_f16_e32 v108, v108, v126
	;; [unrolled: 1-line block ×3, first 2 shown]
	v_sub_f16_e32 v100, v117, v124
	v_mul_f16_e32 v111, 0xbbf1, v101
	v_mul_f16_e32 v103, 0xbb7b, v97
	v_fma_f16 v116, 0x388b, v87, v138
	v_fma_f16 v134, v90, 0x2fb7, -v110
	v_add_f16_e32 v112, v109, v25
	v_add_f16_e32 v109, v115, v86
	v_add_f16_e64 v106, v106, v139
	v_add_f16_e32 v107, v107, v125
	v_add_f16_e32 v108, v108, v127
	;; [unrolled: 1-line block ×3, first 2 shown]
	v_mul_f16_e32 v105, 0xbb7b, v95
	v_mul_f16_e32 v102, 0xb94e, v100
	v_fma_f16 v144, 0x2fb7, v99, v111
	v_fma_f16 v145, v94, 0xb5ac, -v103
	v_add_f16_e32 v109, v116, v109
	v_add_f16_e64 v106, v134, v106
	v_add_f16_e64 v107, v107, v128
	v_add_f16_e32 v127, v108, v104
	v_sub_f16_e32 v108, v120, v121
	v_add_f16_e64 v109, v144, v109
	v_add_f16_e64 v125, v145, v106
	;; [unrolled: 1-line block ×3, first 2 shown]
	v_sub_f16_e32 v104, v114, v122
	v_fmamk_f16 v107, v96, 0xb5ac, v105
	v_add_f16_e32 v114, v117, v124
	v_fma_f16 v117, v98, 0xb9fd, -v102
	v_add_f16_e32 v106, v118, v119
	v_mul_f16_e32 v124, 0xb3a8, v108
	v_mul_f16_e32 v122, 0xb94e, v104
	v_add_f16_e64 v128, v107, v109
	v_sub_f16_e32 v109, v118, v119
	v_add_f16_e32 v117, v117, v125
	v_fma_f16 v119, v106, 0xbbc4, -v124
	v_fmamk_f16 v118, v114, 0xb9fd, v122
	v_add_f16_e32 v107, v120, v121
	v_mul_f16_e32 v120, 0xb3a8, v109
	v_add_f16_e64 v121, v126, v131
	v_add_f16_e32 v117, v119, v117
	v_mul_f16_e32 v119, 0xba95, v93
	v_add_f16_e64 v118, v118, v128
	v_fmamk_f16 v125, v107, 0xbbc4, v120
	v_lshlrev_b32_e32 v121, 16, v121
	v_and_b32_e32 v126, 0xffff, v127
	v_fma_f16 v128, 0x388b, v92, v119
	v_mul_f16_e64 v129, 0xbb7b, v89
	v_add_f16_e64 v115, v132, v25
	v_mul_f16_e32 v127, 0xbb7b, v88
	v_add_f16_e32 v118, v125, v118
	v_or_b32_e32 v121, v121, v126
	v_add_f16_e64 v126, v128, v86
	v_fma_f16 v128, 0xb5ac, v87, v129
	v_mul_f16_e64 v132, 0xbbf1, v93
	v_add_f16_e64 v123, v136, v25
	v_fma_f16 v125, v26, 0xb5ac, -v127
	v_mul_f16_e64 v131, 0xb3a8, v88
	v_pack_b32_f16 v117, v117, v118
	v_add_f16_e64 v118, v128, v126
	v_fma_f16 v126, 0x2fb7, v92, v132
	v_mul_f16_e64 v128, 0xb3a8, v89
	v_mul_f16_e64 v136, 0xb3a8, v101
	v_add_f16_e64 v141, v141, v25
	v_add_f16_e64 v116, v143, v25
	v_add_f16_e32 v113, v125, v113
	v_fma_f16 v125, v26, 0xbbc4, -v131
	v_mul_f16_e64 v134, 0xb3a8, v91
	v_add_f16_e32 v126, v126, v86
	v_fma_f16 v139, 0xbbc4, v87, v128
	v_fma_f16 v143, 0xbbc4, v99, v136
	v_mul_f16_e64 v144, 0x3b7b, v91
	v_add_f16_e64 v125, v125, v141
	v_fma_f16 v141, v90, 0xbbc4, -v134
	v_mul_f16_e64 v145, 0x3b7b, v101
	v_add_f16_e64 v126, v139, v126
	v_add_f16_e64 v118, v143, v118
	v_fma_f16 v139, v90, 0xb5ac, -v144
	v_mul_f16_e64 v143, 0x394e, v97
	v_mul_f16_e64 v148, 0x3770, v97
	v_add_f16_e64 v113, v141, v113
	v_fma_f16 v141, 0xb5ac, v99, v145
	v_mul_f16_e64 v147, 0x394e, v95
	v_add_f16_e64 v125, v139, v125
	v_fma_f16 v139, v94, 0xb9fd, -v143
	v_fma_f16 v149, v94, 0x3b15, -v148
	v_mul_f16_e64 v150, 0x3770, v95
	v_add_f16_e64 v126, v141, v126
	v_fma_f16 v141, 0xb9fd, v96, v147
	v_mul_f16_e64 v151, 0x3bf1, v100
	v_add_f16_e64 v113, v139, v113
	v_add_f16_e64 v125, v149, v125
	v_fma_f16 v139, 0x3b15, v96, v150
	v_mul_f16_e64 v149, 0x3bf1, v104
	v_mul_f16_e64 v153, 0xba95, v104
	v_add_f16_e64 v118, v141, v118
	v_fma_f16 v141, v98, 0x2fb7, -v151
	v_mul_f16_e64 v152, 0xba95, v100
	v_add_f16_e64 v126, v139, v126
	v_fma_f16 v139, 0x2fb7, v114, v149
	v_fma_f16 v154, 0x388b, v114, v153
	v_mul_f16_e64 v155, 0x3770, v108
	v_mul_f16_e64 v156, 0x3770, v109
	v_add_f16_e64 v113, v141, v113
	v_fma_f16 v141, v98, 0x388b, -v152
	v_add_f16_e64 v118, v139, v118
	v_fma_f16 v157, v106, 0x3b15, -v155
	v_add_f16_e64 v126, v154, v126
	v_fma_f16 v154, 0x3b15, v107, v156
	v_add_f16_e64 v125, v141, v125
	v_mul_f16_e64 v139, 0xb94e, v108
	v_mul_f16_e64 v141, 0xb94e, v109
	v_add_f16_e64 v113, v157, v113
	v_add_f16_e64 v118, v154, v118
	v_mul_f16_e64 v157, 0xbb7b, v93
	v_fma_f16 v158, v106, 0xb9fd, -v139
	v_fma_f16 v159, 0xb9fd, v107, v141
	v_mul_f16_e64 v154, 0x394e, v88
	v_pack_b32_f16 v113, v113, v118
	v_mul_f16_e32 v118, 0xb94e, v93
	v_add_f16_e64 v142, v142, v25
	v_add_f16_e64 v125, v158, v125
	;; [unrolled: 1-line block ×3, first 2 shown]
	v_fma_f16 v158, 0xb5ac, v92, v157
	v_mul_f16_e64 v159, 0x394e, v89
	v_fma_f16 v160, v26, 0xb9fd, -v154
	v_mul_f16_e64 v162, 0x3bf1, v88
	v_fma_f16 v163, 0xb9fd, v92, v118
	v_mul_f16_e64 v164, 0x3bf1, v89
	v_mul_f16_e64 v165, 0x3770, v91
	v_add_f16_e64 v158, v158, v86
	v_fma_f16 v161, 0xb9fd, v87, v159
	v_add_f16_e64 v142, v160, v142
	v_fma_f16 v160, v26, 0x2fb7, -v162
	v_add_f16_e64 v163, v163, v86
	v_fma_f16 v166, 0x2fb7, v87, v164
	v_fma_f16 v167, v90, 0x3b15, -v165
	v_mul_f16_e64 v168, 0x3770, v101
	v_add_f16_e64 v158, v161, v158
	v_add_f16_e64 v123, v160, v123
	v_add_f16_e64 v160, v166, v163
	v_add_f16_e64 v142, v167, v142
	v_fma_f16 v161, 0x3b15, v99, v168
	v_mul_f16_e64 v163, 0xba95, v91
	v_mul_f16_e64 v166, 0xba95, v101
	;; [unrolled: 1-line block ×4, first 2 shown]
	v_add_f16_e64 v158, v161, v158
	v_fma_f16 v161, v90, 0x388b, -v163
	v_fma_f16 v170, 0x388b, v99, v166
	v_fma_f16 v171, v94, 0x2fb7, -v167
	v_fma_f16 v172, 0x2fb7, v96, v169
	v_mul_f16_e64 v173, 0x33a8, v97
	v_add_f16_e64 v123, v161, v123
	v_add_f16_e64 v160, v170, v160
	;; [unrolled: 1-line block ×4, first 2 shown]
	v_fma_f16 v161, v94, 0xbbc4, -v173
	v_mul_f16_e64 v170, 0x33a8, v95
	v_mul_f16_e64 v171, 0x33a8, v100
	;; [unrolled: 1-line block ×4, first 2 shown]
	v_add_f16_e64 v123, v161, v123
	v_fma_f16 v161, 0xbbc4, v96, v170
	v_fma_f16 v175, v98, 0xbbc4, -v171
	v_fma_f16 v176, 0xbbc4, v114, v172
	v_fma_f16 v177, v98, 0x3b15, -v174
	v_mul_f16_e64 v178, 0x3770, v104
	v_add_f16_e64 v160, v161, v160
	v_add_f16_e64 v142, v175, v142
	;; [unrolled: 1-line block ×4, first 2 shown]
	v_fma_f16 v161, 0x3b15, v114, v178
	v_mul_f16_e64 v175, 0x3a95, v108
	v_mul_f16_e64 v176, 0x3a95, v109
	;; [unrolled: 1-line block ×4, first 2 shown]
	v_add_f16_e64 v160, v161, v160
	v_fma_f16 v161, v106, 0x388b, -v175
	v_fma_f16 v180, 0x388b, v107, v176
	v_fma_f16 v181, v106, 0xb5ac, -v177
	v_fma_f16 v182, 0xb5ac, v107, v179
	v_pack_b32_f16 v125, v125, v126
	v_add_f16_e64 v126, v161, v142
	v_add_f16_e64 v142, v180, v158
	;; [unrolled: 1-line block ×4, first 2 shown]
	v_mul_f16_e32 v93, 0xb3a8, v93
	v_fma_f16 v119, v92, 0x388b, -v119
	ds_store_2addr_b32 v28, v121, v117 offset1:169
	ds_store_2addr_b32 v56, v113, v125 offset0:82 offset1:251
	v_pack_b32_f16 v113, v126, v142
	v_pack_b32_f16 v117, v123, v158
	v_fma_f16 v121, v92, 0x3b15, -v137
	v_fma_f16 v123, v92, 0x2fb7, -v132
	;; [unrolled: 1-line block ×3, first 2 shown]
	v_fmamk_f16 v126, v92, 0xbbc4, v93
	v_add_f16_e32 v119, v119, v86
	v_fma_f16 v129, v87, 0xb5ac, -v129
	v_mul_f16_e32 v88, 0x3770, v88
	v_add_f16_e64 v130, v130, v25
	v_add_f16_e64 v25, v133, v25
	v_fma_f16 v118, v92, 0xb9fd, -v118
	v_fma_f16 v92, v92, 0xbbc4, -v93
	v_add_f16_e32 v93, v121, v86
	v_add_f16_e32 v121, v123, v86
	v_add_f16_e32 v123, v125, v86
	v_add_f16_e32 v125, v126, v86
	v_fma_f16 v126, v87, 0x388b, -v138
	v_fmac_f16_e32 v127, 0xb5ac, v26
	v_add_f16_e64 v119, v129, v119
	v_fma_f16 v129, v26, 0x3b15, -v88
	v_fmac_f16_e32 v88, 0x3b15, v26
	v_fmac_f16_e64 v135, 0x388b, v26
	v_add_f16_e32 v93, v126, v93
	v_fmac_f16_e64 v131, 0xbbc4, v26
	v_add_f16_e64 v126, v127, v140
	v_fma_f16 v127, v87, 0xbbc4, -v128
	v_fma_f16 v128, v87, 0xb9fd, -v159
	v_mul_f16_e32 v89, 0x3770, v89
	v_add_f16_e32 v25, v88, v25
	v_fma_f16 v88, v99, 0x2fb7, -v111
	v_add_f16_e32 v118, v118, v86
	v_add_f16_e32 v86, v92, v86
	v_add_f16_e64 v92, v135, v146
	v_fmac_f16_e64 v154, 0xb9fd, v26
	v_add_f16_e64 v112, v131, v112
	v_add_f16_e32 v121, v127, v121
	v_fmac_f16_e64 v162, 0x2fb7, v26
	v_add_f16_e64 v123, v128, v123
	v_fma_f16 v128, v87, 0x2fb7, -v164
	v_fmamk_f16 v26, v87, 0x3b15, v89
	v_fma_f16 v87, v87, 0x3b15, -v89
	v_fmac_f16_e32 v110, 0x2fb7, v90
	v_add_f16_e32 v88, v88, v93
	v_fmac_f16_e64 v144, 0xb5ac, v90
	v_fma_f16 v93, v99, 0xb5ac, -v145
	v_mul_f16_e32 v91, 0xb94e, v91
	v_mul_f16_e32 v101, 0xb94e, v101
	v_add_f16_e32 v86, v87, v86
	v_add_f16_e32 v87, v110, v92
	v_fmac_f16_e64 v134, 0xbbc4, v90
	v_fma_f16 v92, v99, 0xbbc4, -v136
	v_fmac_f16_e64 v165, 0x3b15, v90
	v_add_f16_e64 v111, v144, v112
	v_add_f16_e32 v93, v93, v121
	v_fma_f16 v112, v99, 0x3b15, -v168
	v_fmac_f16_e64 v163, 0x388b, v90
	v_fma_f16 v121, v90, 0xb9fd, -v91
	v_fmac_f16_e32 v91, 0xb9fd, v90
	v_fma_f16 v90, v99, 0xb9fd, -v101
	v_add_f16_e64 v116, v129, v116
	v_add_f16_e32 v26, v26, v125
	v_add_f16_e32 v92, v92, v119
	;; [unrolled: 1-line block ×3, first 2 shown]
	v_fmamk_f16 v123, v99, 0xb9fd, v101
	v_add_f16_e32 v86, v90, v86
	v_fma_f16 v90, v96, 0xb9fd, -v147
	v_fmac_f16_e64 v148, 0x3b15, v94
	v_mul_f16_e32 v97, 0x3a95, v97
	v_mul_f16_e32 v95, 0x3a95, v95
	v_add_f16_e64 v110, v134, v126
	v_fma_f16 v119, v99, 0x388b, -v166
	v_add_f16_e32 v99, v121, v116
	v_add_f16_e32 v26, v123, v26
	v_fmac_f16_e32 v103, 0xb5ac, v94
	v_add_f16_e32 v25, v91, v25
	v_fma_f16 v91, v96, 0xb5ac, -v105
	v_fmac_f16_e64 v143, 0xb9fd, v94
	v_add_f16_e32 v90, v90, v92
	v_fmac_f16_e64 v167, 0x2fb7, v94
	v_add_f16_e64 v92, v148, v111
	v_fmac_f16_e64 v173, 0xbbc4, v94
	v_fma_f16 v111, v94, 0x388b, -v97
	v_fmac_f16_e32 v97, 0x388b, v94
	v_fmamk_f16 v94, v96, 0x388b, v95
	v_add_f16_e64 v115, v162, v115
	v_add_f16_e32 v87, v103, v87
	v_add_f16_e32 v88, v91, v88
	v_add_f16_e64 v91, v143, v110
	v_fma_f16 v101, v96, 0x3b15, -v150
	v_fma_f16 v103, v96, 0x2fb7, -v169
	;; [unrolled: 1-line block ×4, first 2 shown]
	v_add_f16_e32 v96, v111, v99
	v_fmac_f16_e32 v102, 0xb9fd, v98
	v_add_f16_e32 v26, v94, v26
	v_add_f16_e32 v25, v97, v25
	v_fma_f16 v94, v114, 0xb9fd, -v122
	v_mul_f16_e32 v97, 0xbb7b, v100
	v_mul_f16_e32 v99, 0xbb7b, v104
	v_add_f16_e64 v127, v154, v130
	v_add_f16_e64 v115, v163, v115
	v_add_f16_e32 v93, v101, v93
	v_add_f16_e32 v86, v95, v86
	;; [unrolled: 1-line block ×3, first 2 shown]
	v_fmac_f16_e64 v151, 0x2fb7, v98
	v_fma_f16 v95, v114, 0x2fb7, -v149
	v_add_f16_e32 v88, v94, v88
	v_fmac_f16_e64 v152, 0x388b, v98
	v_fma_f16 v94, v114, 0x388b, -v153
	v_fmac_f16_e64 v171, 0xbbc4, v98
	v_fmac_f16_e64 v174, 0x3b15, v98
	v_fma_f16 v102, v98, 0xb5ac, -v97
	v_fmac_f16_e32 v97, 0xb5ac, v98
	v_fma_f16 v98, v114, 0xb5ac, -v99
	v_add_f16_e64 v89, v128, v118
	v_add_f16_e64 v118, v165, v127
	v_add_f16_e32 v103, v103, v112
	v_add_f16_e64 v105, v173, v115
	v_add_f16_e32 v90, v95, v90
	v_add_f16_e32 v93, v94, v93
	v_fma_f16 v94, v114, 0xbbc4, -v172
	v_add_f16_e32 v25, v97, v25
	v_fma_f16 v97, v107, 0xbbc4, -v120
	;; [unrolled: 2-line block ×3, first 2 shown]
	v_add_f16_e32 v89, v119, v89
	v_add_f16_e64 v101, v167, v118
	v_add_f16_e32 v94, v94, v103
	v_add_f16_e64 v100, v174, v105
	v_fmamk_f16 v103, v114, 0xb5ac, v99
	v_add_f16_e32 v88, v97, v88
	v_add_f16_e32 v90, v98, v90
	v_fmac_f16_e64 v177, 0xb5ac, v106
	v_mul_f16_e32 v97, 0x3bf1, v108
	v_mul_f16_e32 v98, 0x3bf1, v109
	v_add_f16_e32 v89, v110, v89
	v_add_f16_e64 v95, v171, v101
	v_fma_f16 v101, v114, 0x3b15, -v178
	v_add_f16_e32 v96, v102, v96
	v_add_f16_e32 v26, v103, v26
	v_add_f16_e64 v99, v177, v100
	v_fma_f16 v100, v106, 0x2fb7, -v97
	v_fmac_f16_e32 v97, 0x2fb7, v106
	v_fmamk_f16 v102, v107, 0x2fb7, v98
	v_fma_f16 v98, v107, 0x2fb7, -v98
	v_add_f16_e32 v89, v101, v89
	v_fmac_f16_e64 v175, 0x388b, v106
	v_fma_f16 v103, v107, 0x388b, -v176
	v_fma_f16 v104, v107, 0xb5ac, -v179
	v_add_f16_e64 v91, v151, v91
	v_add_f16_e64 v92, v152, v92
	v_fmac_f16_e64 v155, 0x3b15, v106
	v_fmac_f16_e64 v139, 0xb9fd, v106
	v_fma_f16 v101, v107, 0xb9fd, -v141
	v_fmac_f16_e32 v124, 0xbbc4, v106
	v_add_f16_e32 v96, v100, v96
	v_add_f16_e32 v26, v102, v26
	;; [unrolled: 1-line block ×4, first 2 shown]
	v_add_f16_e64 v95, v175, v95
	v_add_f16_e32 v89, v104, v89
	v_add_f16_e32 v94, v103, v94
	v_add_f16_e64 v91, v155, v91
	v_add_f16_e64 v92, v139, v92
	v_add_f16_e32 v93, v101, v93
	v_add_f16_e32 v87, v124, v87
	v_pack_b32_f16 v26, v96, v26
	v_pack_b32_f16 v25, v25, v86
	v_pack_b32_f16 v86, v99, v89
	v_pack_b32_f16 v89, v95, v94
	v_pack_b32_f16 v92, v92, v93
	v_pack_b32_f16 v90, v91, v90
	v_pack_b32_f16 v87, v87, v88
	ds_store_2addr_b32 v51, v113, v117 offset0:36 offset1:205
	ds_store_2addr_b32 v45, v26, v25 offset0:54 offset1:223
	;; [unrolled: 1-line block ×4, first 2 shown]
	ds_store_b32 v28, v87 offset:8112
	global_wb scope:SCOPE_SE
	s_wait_dscnt 0x0
	s_wait_kmcnt 0x0
	s_barrier_signal -1
	s_barrier_wait -1
	global_inv scope:SCOPE_SE
	s_clause 0xc
	global_load_b32 v86, v28, s[8:9] offset:8788
	global_load_b32 v87, v28, s[2:3] offset:676
	;; [unrolled: 1-line block ×13, first 2 shown]
	ds_load_2addr_b32 v[25:26], v28 offset1:169
	s_mov_b32 s8, 0xe316d94c
	s_mov_b32 s9, 0x3f3dd7e5
	s_wait_dscnt 0x0
	v_lshrrev_b32_e32 v89, 16, v25
	v_lshrrev_b32_e32 v101, 16, v26
	s_wait_loadcnt 0xb
	v_lshrrev_b32_e32 v102, 16, v87
	s_wait_loadcnt 0x8
	;; [unrolled: 2-line block ×3, first 2 shown]
	v_lshrrev_b32_e32 v109, 16, v93
	v_mul_f16_e32 v104, v101, v102
	v_mul_f16_e32 v102, v26, v102
	v_lshrrev_b32_e32 v88, 16, v86
	s_delay_alu instid0(VALU_DEP_3) | instskip(NEXT) | instid1(VALU_DEP_3)
	v_fma_f16 v26, v26, v87, -v104
	v_fmac_f16_e32 v102, v101, v87
	v_lshrrev_b32_e32 v104, 16, v91
	s_delay_alu instid0(VALU_DEP_4) | instskip(SKIP_1) | instid1(VALU_DEP_4)
	v_mul_f16_e32 v103, v25, v88
	v_mul_f16_e32 v88, v89, v88
	v_pack_b32_f16 v26, v26, v102
	s_delay_alu instid0(VALU_DEP_3) | instskip(NEXT) | instid1(VALU_DEP_3)
	v_fmac_f16_e32 v103, v89, v86
	v_fma_f16 v25, v25, v86, -v88
	v_lshrrev_b32_e32 v88, 16, v90
	s_delay_alu instid0(VALU_DEP_2)
	v_pack_b32_f16 v25, v25, v103
	ds_store_2addr_b32 v28, v25, v26 offset1:169
	ds_load_2addr_b32 v[25:26], v56 offset0:82 offset1:251
	ds_load_2addr_b32 v[86:87], v51 offset0:36 offset1:205
	ds_load_b32 v101, v28 offset:8112
	s_wait_dscnt 0x2
	v_lshrrev_b32_e32 v89, 16, v25
	v_mul_f16_e32 v102, v25, v88
	v_lshrrev_b32_e32 v105, 16, v26
	s_wait_dscnt 0x1
	v_lshrrev_b32_e32 v107, 16, v86
	v_lshrrev_b32_e32 v108, 16, v87
	v_mul_f16_e32 v103, v89, v88
	v_fmac_f16_e32 v102, v89, v90
	ds_load_2addr_b32 v[88:89], v45 offset0:54 offset1:223
	v_fma_f16 v90, v25, v90, -v103
	v_mul_f16_e32 v25, v105, v104
	v_mul_f16_e32 v103, v26, v104
	;; [unrolled: 1-line block ×4, first 2 shown]
	v_pack_b32_f16 v90, v90, v102
	v_fma_f16 v110, v26, v91, -v25
	v_fmac_f16_e32 v103, v105, v91
	v_fmac_f16_e32 v104, v107, v92
	v_fma_f16 v86, v86, v92, -v106
	v_mul_f16_e32 v91, v108, v109
	v_mul_f16_e32 v92, v87, v109
	ds_load_2addr_b32 v[25:26], v40 offset0:72 offset1:241
	v_pack_b32_f16 v102, v110, v103
	s_wait_loadcnt 0x3
	v_lshrrev_b32_e32 v106, 16, v97
	v_fma_f16 v87, v87, v93, -v91
	v_lshrrev_b32_e32 v91, 16, v94
	s_wait_dscnt 0x1
	v_lshrrev_b32_e32 v103, 16, v88
	v_fmac_f16_e32 v92, v108, v93
	ds_store_2addr_b32 v56, v90, v102 offset0:82 offset1:251
	v_pack_b32_f16 v90, v86, v104
	v_mul_f16_e32 v93, v88, v91
	v_mul_f16_e32 v91, v103, v91
	v_lshrrev_b32_e32 v102, 16, v89
	v_lshrrev_b32_e32 v104, 16, v95
	v_pack_b32_f16 v92, v87, v92
	ds_load_2addr_b32 v[86:87], v35 offset0:26 offset1:195
	v_fmac_f16_e32 v93, v103, v94
	v_fma_f16 v88, v88, v94, -v91
	v_mul_f16_e32 v91, v102, v104
	v_lshrrev_b32_e32 v103, 16, v96
	v_mul_f16_e32 v94, v89, v104
	s_wait_dscnt 0x2
	v_lshrrev_b32_e32 v104, 16, v25
	v_lshrrev_b32_e32 v105, 16, v26
	v_fma_f16 v89, v89, v95, -v91
	v_mul_f16_e32 v91, v25, v103
	v_fmac_f16_e32 v94, v102, v95
	v_mul_f16_e32 v95, v104, v103
	v_mul_f16_e32 v102, v105, v106
	v_mul_f16_e32 v103, v26, v106
	v_fmac_f16_e32 v91, v104, v96
	s_wait_loadcnt 0x2
	v_lshrrev_b32_e32 v104, 16, v98
	v_fma_f16 v25, v25, v96, -v95
	v_fma_f16 v26, v26, v97, -v102
	v_fmac_f16_e32 v103, v105, v97
	s_wait_loadcnt 0x1
	v_lshrrev_b32_e32 v102, 16, v99
	s_wait_dscnt 0x0
	v_lshrrev_b32_e32 v95, 16, v86
	v_mul_f16_e32 v96, v86, v104
	v_lshrrev_b32_e32 v97, 16, v87
	v_lshrrev_b32_e32 v105, 16, v101
	s_wait_loadcnt 0x0
	v_lshrrev_b32_e32 v106, 16, v100
	v_mul_f16_e32 v104, v95, v104
	v_fmac_f16_e32 v96, v95, v98
	v_mul_f16_e32 v95, v97, v102
	v_mul_f16_e32 v102, v87, v102
	;; [unrolled: 1-line block ×4, first 2 shown]
	v_fma_f16 v86, v86, v98, -v104
	v_fma_f16 v87, v87, v99, -v95
	v_fmac_f16_e32 v102, v97, v99
	v_fma_f16 v95, v101, v100, -v107
	v_fmac_f16_e32 v106, v105, v100
	v_pack_b32_f16 v88, v88, v93
	v_pack_b32_f16 v89, v89, v94
	;; [unrolled: 1-line block ×7, first 2 shown]
	ds_store_2addr_b32 v51, v90, v92 offset0:36 offset1:205
	ds_store_2addr_b32 v45, v88, v89 offset0:54 offset1:223
	;; [unrolled: 1-line block ×4, first 2 shown]
	ds_store_b32 v28, v91 offset:8112
	global_wb scope:SCOPE_SE
	s_wait_dscnt 0x0
	s_barrier_signal -1
	s_barrier_wait -1
	global_inv scope:SCOPE_SE
	ds_load_2addr_b32 v[25:26], v28 offset1:169
	ds_load_2addr_b32 v[94:95], v56 offset0:82 offset1:251
	ds_load_2addr_b32 v[86:87], v51 offset0:36 offset1:205
	;; [unrolled: 1-line block ×3, first 2 shown]
	ds_load_b32 v109, v28 offset:8112
	ds_load_2addr_b32 v[96:97], v35 offset0:26 offset1:195
	s_wait_dscnt 0x5
	v_alignbit_b32 v88, s0, v26, 16
	s_wait_dscnt 0x4
	v_alignbit_b32 v89, s0, v94, 16
	v_pk_add_f16 v90, v26, v25 op_sel_hi:[1,0]
	s_wait_dscnt 0x1
	v_alignbit_b32 v137, s0, v109, 16
	v_pk_add_f16 v88, v88, v25 op_sel:[0,1] op_sel_hi:[1,0]
	s_delay_alu instid0(VALU_DEP_3)
	v_pk_add_f16 v92, v90, v94
	ds_load_2addr_b32 v[90:91], v40 offset0:72 offset1:241
	global_wb scope:SCOPE_SE
	s_wait_dscnt 0x0
	v_pk_add_f16 v88, v88, v89
	v_alignbit_b32 v89, s0, v95, 16
	v_pk_add_f16 v92, v92, v95
	s_barrier_signal -1
	s_barrier_wait -1
	global_inv scope:SCOPE_SE
	v_pk_add_f16 v88, v88, v89
	v_alignbit_b32 v89, s0, v86, 16
	v_pk_add_f16 v92, v92, v86
	s_delay_alu instid0(VALU_DEP_2) | instskip(SKIP_1) | instid1(VALU_DEP_3)
	v_pk_add_f16 v88, v88, v89
	v_alignbit_b32 v89, s0, v87, 16
	v_pk_add_f16 v92, v92, v87
	s_delay_alu instid0(VALU_DEP_2) | instskip(SKIP_2) | instid1(VALU_DEP_2)
	v_pk_add_f16 v88, v88, v89
	v_alignbit_b32 v89, s0, v104, 16
	v_alignbit_b32 v98, s0, v91, 16
	v_pk_add_f16 v88, v88, v89
	v_alignbit_b32 v89, s0, v105, 16
	s_delay_alu instid0(VALU_DEP_1) | instskip(SKIP_2) | instid1(VALU_DEP_2)
	v_pk_add_f16 v88, v88, v89
	v_pk_add_f16 v89, v92, v104
	v_alignbit_b32 v92, s0, v90, 16
	v_pk_add_f16 v93, v89, v105
	s_delay_alu instid0(VALU_DEP_2)
	v_pk_add_f16 v92, v88, v92
	v_pk_add_f16 v88, v91, v86
	v_pk_add_f16 v89, v86, v91 neg_lo:[0,1] neg_hi:[0,1]
	v_pk_add_f16 v86, v90, v87
	v_pk_add_f16 v99, v93, v90
	v_pk_add_f16 v93, v26, v109 neg_lo:[0,1] neg_hi:[0,1]
	v_pk_add_f16 v92, v92, v98
	v_alignbit_b32 v98, s0, v96, 16
	v_pk_add_f16 v87, v87, v90 neg_lo:[0,1] neg_hi:[0,1]
	v_pk_add_f16 v90, v99, v91
	v_lshrrev_b32_e32 v100, 16, v93
	v_pk_add_f16 v91, v97, v94
	v_pk_add_f16 v102, v92, v98
	;; [unrolled: 1-line block ×4, first 2 shown]
	v_mul_f16_e32 v99, 0xb770, v100
	v_pk_add_f16 v92, v94, v97 neg_lo:[0,1] neg_hi:[0,1]
	v_pk_add_f16 v26, v96, v95
	v_pk_add_f16 v90, v95, v96 neg_lo:[0,1] neg_hi:[0,1]
	v_mul_f16_e32 v95, 0xba95, v100
	v_fmamk_f16 v94, v98, 0x3b15, v99
	v_mul_f16_e32 v106, 0xbb7b, v100
	v_pk_add_f16 v110, v101, v97
	v_lshrrev_b32_e32 v114, 16, v92
	v_fma_f16 v101, v98, 0x388b, -v95
	v_add_f16_e32 v111, v94, v25
	v_fma_f16 v94, v98, 0x3b15, -v99
	v_fmamk_f16 v99, v98, 0x388b, v95
	v_mul_f16_e32 v96, 0xbbf1, v100
	v_lshrrev_b32_e32 v117, 16, v98
	v_fma_f16 v116, v98, 0xb5ac, -v106
	v_add_f16_e32 v95, v94, v25
	v_add_f16_e32 v112, v99, v25
	v_fmamk_f16 v94, v98, 0xb5ac, v106
	v_mul_f16_e32 v99, 0xb94e, v100
	v_mul_f16_e32 v100, 0x3bf1, v114
	v_fmamk_f16 v103, v98, 0x2fb7, v96
	v_fma_f16 v107, v98, 0x2fb7, -v96
	v_add_f16_e32 v115, v94, v25
	v_fmamk_f16 v94, v98, 0xb9fd, v99
	v_fma_f16 v118, v98, 0xb9fd, -v99
	v_pk_mul_f16 v108, 0xbbc4, v98 op_sel_hi:[0,1]
	v_fmamk_f16 v98, v91, 0x2fb7, v100
	v_mul_f16_e32 v106, 0xb9fd, v117
	v_add_f16_e32 v94, v94, v25
	v_lshrrev_b32_e32 v119, 16, v91
	v_lshrrev_b32_e32 v120, 16, v90
	v_add_f16_e32 v96, v101, v25
	v_add_f16_e32 v113, v103, v25
	;; [unrolled: 1-line block ×3, first 2 shown]
	v_lshrrev_b32_e32 v107, 16, v25
	v_add_f16_e32 v121, v98, v94
	v_fmamk_f16 v94, v93, 0x394e, v106
	v_mul_f16_e32 v103, 0x2fb7, v119
	v_mul_f16_e32 v98, 0xba95, v120
	v_lshrrev_b32_e32 v122, 16, v26
	v_lshrrev_b32_e32 v123, 16, v89
	v_add_f16_e32 v124, v94, v107
	v_fmamk_f16 v125, v92, 0xbbf1, v103
	v_fmamk_f16 v126, v26, 0x388b, v98
	v_mul_f16_e32 v99, 0x388b, v122
	v_mul_f16_e32 v94, 0x33a8, v123
	v_alignbit_b32 v97, s0, v97, 16
	v_add_f16_e32 v124, v125, v124
	v_add_f16_e32 v121, v126, v121
	v_fmamk_f16 v125, v90, 0x3a95, v99
	v_fmamk_f16 v126, v88, 0xbbc4, v94
	v_lshrrev_b32_e32 v128, 16, v88
	v_pk_add_f16 v130, v102, v97
	v_pk_add_f16 v102, v104, v105 neg_lo:[0,1] neg_hi:[0,1]
	v_add_f16_e32 v124, v125, v124
	v_add_f16_e32 v121, v126, v121
	v_mul_f16_e64 v97, 0xbbc4, v128
	v_lshrrev_b32_e32 v125, 16, v87
	v_lshrrev_b32_e32 v126, 16, v86
	v_pk_add_f16 v104, v105, v104
	v_pk_fma_f16 v127, 0xb3a8, v93, v108 op_sel:[0,0,1] op_sel_hi:[0,1,0]
	v_pk_fma_f16 v129, 0xb3a8, v93, v108 op_sel:[0,0,1] op_sel_hi:[0,1,0] neg_lo:[0,1,0] neg_hi:[0,1,0]
	v_fma_f16 v131, 0xb3a8, v89, v97
	v_mul_f16_e32 v108, 0x3770, v125
	v_mul_f16_e32 v105, 0x3b15, v126
	v_lshrrev_b32_e32 v132, 16, v102
	v_lshrrev_b32_e32 v133, 16, v104
	v_add_f16_e64 v124, v131, v124
	v_fma_f16 v131, 0x3b15, v86, v108
	v_fma_f16 v134, 0xb770, v87, v105
	v_mul_f16_e64 v135, 0xbb7b, v132
	v_mul_f16_e64 v136, 0xb5ac, v133
	v_pk_add_f16 v109, v110, v109
	v_add_f16_e64 v121, v131, v121
	v_add_f16_e64 v124, v134, v124
	v_fma_f16 v131, 0xb5ac, v104, v135
	v_fma_f16 v134, 0x3b7b, v102, v136
	v_pk_add_f16 v110, v130, v137
	v_add_f16_e32 v116, v116, v25
	v_add_f16_e32 v118, v118, v25
	v_add_f16_e64 v121, v131, v121
	v_add_f16_e64 v124, v134, v124
	v_perm_b32 v109, v109, v110, 0x1000504
	v_pk_add_f16 v127, v127, v25 op_sel:[0,1] op_sel_hi:[1,0]
	v_pk_add_f16 v25, v129, v25 op_sel:[0,1] op_sel_hi:[1,0]
	v_mul_f16_e64 v130, 0xbb7b, v114
	v_pack_b32_f16 v110, v121, v124
	v_mul_f16_e32 v121, 0x3b15, v117
	v_mul_f16_e32 v124, 0xba95, v114
	v_mul_f16_e64 v131, 0x388b, v117
	v_mul_f16_e64 v138, 0xb5ac, v119
	ds_store_2addr_b32 v60, v109, v110 offset1:5
	v_fmamk_f16 v109, v93, 0x3770, v121
	v_mul_f16_e32 v110, 0x388b, v119
	v_fma_f16 v129, 0x388b, v91, v124
	v_fma_f16 v137, 0x3a95, v93, v131
	v_mul_f16_e64 v139, 0xb3a8, v114
	v_add_f16_e32 v109, v109, v107
	v_fma_f16 v134, 0x3a95, v92, v110
	v_add_f16_e64 v111, v129, v111
	v_fma_f16 v129, 0xb5ac, v91, v130
	v_mul_f16_e64 v141, 0xbbc4, v119
	v_mul_f16_e32 v114, 0x394e, v114
	v_add_f16_e64 v109, v134, v109
	v_mul_f16_e64 v134, 0x2fb7, v117
	v_add_f16_e64 v112, v129, v112
	v_add_f16_e64 v129, v137, v107
	v_fma_f16 v137, 0x3b7b, v92, v138
	v_fma_f16 v142, 0x33a8, v92, v141
	v_fma_f16 v140, 0x3bf1, v93, v134
	v_fma_f16 v143, 0xb9fd, v91, v114
	v_mul_f16_e64 v144, 0xbbf1, v120
	v_add_f16_e64 v129, v137, v129
	v_fma_f16 v137, 0xbbc4, v91, v139
	v_add_f16_e64 v140, v140, v107
	v_mul_f16_e64 v145, 0x2fb7, v122
	v_add_f16_e64 v115, v143, v115
	v_mul_f16_e64 v143, 0xb3a8, v120
	v_add_f16_e64 v113, v137, v113
	v_add_f16_e64 v137, v142, v140
	v_fma_f16 v140, 0x2fb7, v26, v144
	v_fma_f16 v142, 0x3bf1, v90, v145
	v_mul_f16_e64 v146, 0xbbc4, v122
	v_mul_f16_e64 v147, 0xbb7b, v123
	;; [unrolled: 1-line block ×3, first 2 shown]
	v_add_f16_e64 v111, v140, v111
	v_add_f16_e64 v109, v142, v109
	v_fma_f16 v140, 0xbbc4, v26, v143
	v_fma_f16 v142, 0x33a8, v90, v146
	v_fma_f16 v148, 0xb5ac, v88, v147
	v_mul_f16_e64 v150, 0x394e, v123
	v_mul_f16_e64 v151, 0xb94e, v125
	v_add_f16_e64 v112, v140, v112
	v_add_f16_e64 v129, v142, v129
	;; [unrolled: 1-line block ×3, first 2 shown]
	v_fma_f16 v140, 0x3b7b, v89, v149
	v_fma_f16 v142, 0xb9fd, v88, v150
	v_mul_f16_e64 v148, 0xb9fd, v128
	v_mul_f16_e64 v154, 0x3bf1, v125
	;; [unrolled: 1-line block ×3, first 2 shown]
	v_add_f16_e64 v109, v140, v109
	v_add_f16_e64 v112, v142, v112
	v_fma_f16 v140, 0xb94e, v89, v148
	v_fma_f16 v142, 0xb9fd, v86, v151
	v_mul_f16_e64 v155, 0x2fb7, v126
	v_fma_f16 v153, 0x394e, v87, v152
	v_mul_f16_e64 v157, 0x3b15, v133
	v_add_f16_e64 v129, v140, v129
	v_add_f16_e64 v111, v142, v111
	v_fma_f16 v140, 0x2fb7, v86, v154
	v_mul_f16_e64 v142, 0xb3a8, v132
	v_fma_f16 v156, 0xbbf1, v87, v155
	v_add_f16_e64 v109, v153, v109
	v_mul_f16_e64 v153, 0x3770, v132
	v_add_f16_e64 v112, v140, v112
	v_fma_f16 v140, 0xbbc4, v104, v142
	v_add_f16_e64 v129, v156, v129
	v_fma_f16 v156, 0xb770, v102, v157
	v_mul_f16_e32 v117, 0xb5ac, v117
	v_fma_f16 v158, 0x3b15, v104, v153
	v_add_f16_e64 v111, v140, v111
	v_mul_f16_e64 v140, 0xbbc4, v133
	v_add_f16_e64 v129, v156, v129
	v_fma_f16 v156, 0x3b7b, v93, v117
	v_mul_f16_e32 v119, 0xb9fd, v119
	v_mul_f16_e64 v160, 0xb5ac, v122
	v_fma_f16 v159, 0x33a8, v102, v140
	v_add_f16_e64 v112, v158, v112
	v_mul_f16_e64 v158, 0x3b7b, v120
	v_add_f16_e64 v156, v156, v107
	v_fma_f16 v161, 0xb94e, v92, v119
	v_add_f16_e64 v109, v159, v109
	v_fma_f16 v159, 0xbb7b, v90, v160
	v_mul_f16_e32 v120, 0x3770, v120
	v_fma_f16 v162, 0xb5ac, v26, v158
	v_add_f16_e64 v156, v161, v156
	v_mul_f16_e32 v122, 0x3b15, v122
	v_add_f16_e64 v137, v159, v137
	v_fma_f16 v159, 0x3b15, v26, v120
	v_mul_f16_e64 v161, 0x3770, v123
	v_add_f16_e64 v113, v162, v113
	v_mul_f16_e64 v162, 0x3b15, v128
	v_fma_f16 v163, 0xb770, v90, v122
	v_mul_f16_e32 v123, 0xbbf1, v123
	v_add_f16_e64 v115, v159, v115
	v_fma_f16 v159, 0x3b15, v88, v161
	v_fma_f16 v164, 0xb770, v89, v162
	v_add_f16_e64 v156, v163, v156
	v_fma_f16 v163, 0x2fb7, v88, v123
	v_mul_f16_e64 v128, 0x2fb7, v128
	v_add_f16_e64 v113, v159, v113
	v_mul_f16_e64 v159, 0xba95, v125
	v_add_f16_e64 v137, v164, v137
	v_add_f16_e64 v115, v163, v115
	v_fma_f16 v163, 0x3bf1, v89, v128
	v_mul_f16_e64 v164, 0x388b, v126
	v_mul_f16_e32 v125, 0x33a8, v125
	v_fma_f16 v165, 0x388b, v86, v159
	v_mul_f16_e32 v126, 0xbbc4, v126
	v_add_f16_e64 v156, v163, v156
	v_pk_mul_f16 v167, 0x3b15, v91 op_sel_hi:[0,1]
	v_fma_f16 v166, 0xbbc4, v86, v125
	v_add_f16_e64 v113, v165, v113
	v_fma_f16 v165, 0xb3a8, v87, v126
	v_fma_f16 v163, 0x3a95, v87, v164
	v_mul_f16_e64 v169, 0xb9fd, v133
	v_add_f16_e64 v115, v166, v115
	v_pk_fma_f16 v166, 0x3770, v92, v167 op_sel:[0,0,1] op_sel_hi:[0,1,0] neg_lo:[0,1,0] neg_hi:[0,1,0]
	v_add_f16_e64 v156, v165, v156
	v_pk_fma_f16 v165, 0x3770, v92, v167 op_sel:[0,0,1] op_sel_hi:[0,1,0]
	v_pk_mul_f16 v167, 0xb9fd, v26 op_sel_hi:[0,1]
	v_add_f16_e64 v137, v163, v137
	v_pk_add_f16 v25, v166, v25
	v_mul_f16_e64 v163, 0xb94e, v132
	v_pk_add_f16 v127, v165, v127
	v_pk_fma_f16 v165, 0xb94e, v90, v167 op_sel:[0,0,1] op_sel_hi:[0,1,0]
	v_pk_fma_f16 v166, 0xb94e, v90, v167 op_sel:[0,0,1] op_sel_hi:[0,1,0] neg_lo:[0,1,0] neg_hi:[0,1,0]
	v_pk_mul_f16 v167, 0x388b, v88 op_sel_hi:[0,1]
	v_mul_f16_e64 v132, 0x3a95, v132
	v_mul_f16_e64 v133, 0x388b, v133
	v_pk_add_f16 v127, v165, v127
	v_pk_add_f16 v25, v166, v25
	v_pk_fma_f16 v165, 0x3a95, v89, v167 op_sel:[0,0,1] op_sel_hi:[0,1,0]
	v_pk_fma_f16 v166, 0x3a95, v89, v167 op_sel:[0,0,1] op_sel_hi:[0,1,0] neg_lo:[0,1,0] neg_hi:[0,1,0]
	v_pk_mul_f16 v167, 0xb5ac, v86 op_sel_hi:[0,1]
	v_fma_f16 v170, 0x388b, v104, v132
	v_fma_f16 v171, 0xba95, v102, v133
	v_pk_add_f16 v127, v165, v127
	v_pk_add_f16 v25, v166, v25
	v_pk_fma_f16 v165, 0xbb7b, v87, v167 op_sel:[0,0,1] op_sel_hi:[0,1,0]
	v_pk_fma_f16 v166, 0xbb7b, v87, v167 op_sel:[0,0,1] op_sel_hi:[0,1,0] neg_lo:[0,1,0] neg_hi:[0,1,0]
	v_pk_mul_f16 v167, 0x2fb7, v104 op_sel_hi:[0,1]
	v_add_f16_e64 v115, v170, v115
	v_add_f16_e64 v156, v171, v156
	v_pk_add_f16 v127, v165, v127
	v_pk_add_f16 v25, v166, v25
	v_pk_fma_f16 v165, 0x3bf1, v102, v167 op_sel:[0,0,1] op_sel_hi:[0,1,0]
	v_pk_fma_f16 v166, 0x3bf1, v102, v167 op_sel:[0,0,1] op_sel_hi:[0,1,0] neg_lo:[0,1,0] neg_hi:[0,1,0]
	v_fmac_f16_e32 v121, 0xb770, v93
	v_fmac_f16_e64 v131, 0xba95, v93
	v_fmac_f16_e64 v134, 0xbbf1, v93
	v_pk_add_f16 v127, v165, v127
	v_pk_add_f16 v25, v166, v25
	v_fmac_f16_e32 v117, 0xbb7b, v93
	v_fmac_f16_e32 v106, 0xb94e, v93
	v_pack_b32_f16 v109, v111, v109
	v_pack_b32_f16 v111, v115, v156
	v_alignbit_b32 v115, v127, v25, 16
	v_alignbit_b32 v25, v25, v127, 16
	v_add_f16_e32 v93, v121, v107
	v_add_f16_e64 v121, v131, v107
	v_add_f16_e64 v127, v134, v107
	v_add_f16_e32 v117, v117, v107
	v_add_f16_e32 v106, v106, v107
	v_fma_f16 v107, v91, 0x388b, -v124
	v_fmac_f16_e32 v110, 0xba95, v92
	v_fmac_f16_e64 v138, 0xbb7b, v92
	v_fmac_f16_e32 v103, 0x3bf1, v92
	v_pack_b32_f16 v112, v112, v129
	v_fma_f16 v124, v91, 0xb5ac, -v130
	v_fma_f16 v129, v91, 0xbbc4, -v139
	v_add_f16_e32 v95, v107, v95
	v_add_f16_e32 v93, v110, v93
	v_add_f16_e64 v107, v138, v121
	v_fmac_f16_e64 v141, 0xb3a8, v92
	v_fma_f16 v110, v91, 0xb9fd, -v114
	v_fma_f16 v91, v91, 0x2fb7, -v100
	v_add_f16_e32 v103, v103, v106
	v_fma_f16 v106, v26, 0x2fb7, -v144
	v_fmac_f16_e64 v146, 0xb3a8, v90
	v_add_f16_e32 v96, v124, v96
	v_add_f16_e64 v101, v129, v101
	v_fmac_f16_e32 v119, 0x394e, v92
	v_add_f16_e64 v92, v141, v127
	v_add_f16_e32 v100, v110, v116
	v_add_f16_e32 v91, v91, v118
	v_fma_f16 v114, v26, 0xbbc4, -v143
	v_fma_f16 v116, v26, 0xb5ac, -v158
	v_add_f16_e32 v95, v106, v95
	v_add_f16_e64 v106, v146, v107
	v_fmac_f16_e64 v160, 0x3b7b, v90
	v_fma_f16 v107, v26, 0x3b15, -v120
	v_fma_f16 v26, v26, 0x388b, -v98
	v_fmac_f16_e32 v99, 0xba95, v90
	v_fmac_f16_e64 v145, 0xbbf1, v90
	v_add_f16_e32 v96, v114, v96
	v_add_f16_e32 v101, v116, v101
	v_fmac_f16_e32 v122, 0x3770, v90
	v_add_f16_e64 v90, v160, v92
	v_add_f16_e32 v92, v107, v100
	v_add_f16_e32 v26, v26, v91
	;; [unrolled: 1-line block ×3, first 2 shown]
	v_fma_f16 v100, v88, 0xb9fd, -v150
	v_fma_f16 v103, v88, 0x3b15, -v161
	v_add_f16_e32 v110, v119, v117
	v_fma_f16 v99, v88, 0xb5ac, -v147
	v_fmac_f16_e32 v97, 0x33a8, v89
	v_add_f16_e32 v96, v100, v96
	v_add_f16_e32 v100, v103, v101
	v_fma_f16 v101, v88, 0x2fb7, -v123
	v_fma_f16 v88, v88, 0xbbc4, -v94
	v_add_f16_e32 v98, v122, v110
	v_fmac_f16_e64 v148, 0x394e, v89
	v_fmac_f16_e64 v162, 0x3770, v89
	;; [unrolled: 1-line block ×3, first 2 shown]
	v_add_f16_e32 v26, v88, v26
	v_add_f16_e32 v88, v97, v91
	v_fma_f16 v94, v86, 0x2fb7, -v154
	v_fma_f16 v97, v86, 0x388b, -v159
	v_fmac_f16_e64 v149, 0xbb7b, v89
	v_add_f16_e32 v95, v99, v95
	v_add_f16_e64 v99, v148, v106
	v_add_f16_e64 v89, v162, v90
	v_add_f16_e32 v90, v101, v92
	v_add_f16_e64 v92, v128, v98
	v_fma_f16 v91, v86, 0xb9fd, -v151
	v_fmac_f16_e64 v155, 0x3bf1, v87
	v_add_f16_e32 v94, v94, v96
	v_add_f16_e32 v96, v97, v100
	v_fmac_f16_e64 v164, 0xba95, v87
	v_fma_f16 v97, v86, 0xbbc4, -v125
	v_fmac_f16_e32 v126, 0x33a8, v87
	v_add_f16_e64 v93, v145, v93
	v_fma_f16 v168, 0xb9fd, v104, v163
	v_fmac_f16_e64 v152, 0xb94e, v87
	v_add_f16_e32 v91, v91, v95
	v_add_f16_e64 v95, v155, v99
	v_fma_f16 v86, v86, 0x3b15, -v108
	v_fmac_f16_e32 v105, 0x3770, v87
	v_add_f16_e64 v87, v164, v89
	v_add_f16_e32 v89, v97, v90
	v_add_f16_e32 v90, v126, v92
	v_fma_f16 v92, v104, 0xbbc4, -v142
	v_fma_f16 v97, v104, 0x3b15, -v153
	v_fmac_f16_e64 v157, 0x3770, v102
	v_add_f16_e64 v93, v149, v93
	v_add_f16_e64 v113, v168, v113
	v_fma_f16 v168, 0x394e, v102, v169
	v_add_f16_e32 v26, v86, v26
	v_add_f16_e32 v86, v105, v88
	;; [unrolled: 1-line block ×4, first 2 shown]
	v_add_f16_e64 v92, v157, v95
	v_fma_f16 v95, v104, 0x388b, -v132
	v_fma_f16 v97, v104, 0xb5ac, -v135
	v_fmac_f16_e64 v133, 0x3a95, v102
	v_fmac_f16_e64 v136, 0xbb7b, v102
	v_add_f16_e64 v93, v152, v93
	v_fma_f16 v94, v104, 0xb9fd, -v163
	v_fmac_f16_e64 v140, 0xb3a8, v102
	v_fmac_f16_e64 v169, 0xb94e, v102
	v_add_f16_e64 v137, v168, v137
	v_add_f16_e32 v89, v95, v89
	v_add_f16_e64 v90, v133, v90
	v_add_f16_e32 v26, v97, v26
	v_add_f16_e64 v86, v136, v86
	v_add_f16_e32 v94, v94, v96
	v_add_f16_e64 v87, v169, v87
	v_add_f16_e64 v93, v140, v93
	v_pack_b32_f16 v113, v113, v137
	v_pack_b32_f16 v89, v89, v90
	;; [unrolled: 1-line block ×6, first 2 shown]
	ds_store_2addr_b32 v60, v109, v112 offset0:1 offset1:2
	ds_store_2addr_b32 v60, v113, v111 offset0:3 offset1:4
	;; [unrolled: 1-line block ×5, first 2 shown]
	ds_store_b32 v60, v88 offset:48
	global_wb scope:SCOPE_SE
	s_wait_dscnt 0x0
	s_barrier_signal -1
	s_barrier_wait -1
	global_inv scope:SCOPE_SE
	ds_load_2addr_b32 v[86:87], v28 offset1:169
	ds_load_2addr_b32 v[25:26], v56 offset0:82 offset1:251
	ds_load_2addr_b32 v[88:89], v51 offset0:36 offset1:205
	ds_load_2addr_b32 v[90:91], v45 offset0:54 offset1:223
	s_wait_dscnt 0x3
	v_lshrrev_b32_e32 v60, 16, v87
	s_wait_dscnt 0x2
	v_lshrrev_b32_e32 v93, 16, v25
	v_lshrrev_b32_e32 v95, 16, v26
	v_mul_f16_e32 v92, v73, v87
	v_mul_f16_e32 v94, v72, v25
	;; [unrolled: 1-line block ×5, first 2 shown]
	s_wait_dscnt 0x1
	v_lshrrev_b32_e32 v72, 16, v88
	v_fma_f16 v92, v8, v60, -v92
	v_fma_f16 v93, v9, v93, -v94
	v_mul_f16_e32 v60, v71, v26
	v_fmac_f16_e32 v97, v9, v25
	v_fmac_f16_e32 v98, v10, v26
	v_mul_f16_e32 v9, v70, v88
	v_mul_f16_e32 v26, v70, v72
	ds_load_2addr_b32 v[70:71], v40 offset0:72 offset1:241
	v_fma_f16 v94, v10, v95, -v60
	v_lshrrev_b32_e32 v25, 16, v89
	v_fma_f16 v60, v11, v72, -v9
	ds_load_2addr_b32 v[72:73], v35 offset0:26 offset1:195
	s_wait_dscnt 0x2
	v_lshrrev_b32_e32 v9, 16, v90
	v_fmac_f16_e32 v96, v8, v87
	v_mul_f16_e32 v87, v68, v90
	v_fmac_f16_e32 v26, v11, v88
	v_mul_f16_e32 v10, v69, v25
	v_mul_f16_e32 v8, v68, v9
	ds_load_b32 v68, v28 offset:8112
	v_mul_f16_e32 v11, v69, v89
	v_lshrrev_b32_e32 v69, 16, v91
	v_fmac_f16_e32 v10, v4, v89
	v_fma_f16 v9, v5, v9, -v87
	v_fmac_f16_e32 v8, v5, v90
	v_fma_f16 v11, v4, v25, -v11
	v_mul_f16_e32 v4, v67, v69
	v_mul_f16_e32 v5, v67, v91
	s_wait_dscnt 0x2
	v_lshrrev_b32_e32 v25, 16, v70
	v_lshrrev_b32_e32 v67, 16, v71
	v_mul_f16_e32 v87, v66, v70
	v_fmac_f16_e32 v4, v6, v91
	v_fma_f16 v5, v6, v69, -v5
	s_wait_dscnt 0x1
	v_lshrrev_b32_e32 v69, 16, v72
	v_mul_f16_e32 v6, v66, v25
	v_mul_f16_e32 v66, v65, v67
	v_fma_f16 v25, v7, v25, -v87
	v_lshrrev_b32_e32 v87, 16, v73
	v_mul_f16_e32 v88, v64, v69
	v_fmac_f16_e32 v6, v7, v70
	v_fmac_f16_e32 v66, v0, v71
	v_mul_f16_e32 v7, v65, v71
	v_mul_f16_e32 v65, v61, v87
	s_wait_dscnt 0x0
	v_lshrrev_b32_e32 v70, 16, v68
	v_lshrrev_b32_e32 v71, 16, v86
	v_fmac_f16_e32 v88, v1, v72
	v_mul_f16_e32 v64, v64, v72
	v_fmac_f16_e32 v65, v2, v73
	v_mul_f16_e32 v72, v62, v68
	v_mul_f16_e32 v61, v61, v73
	;; [unrolled: 1-line block ×3, first 2 shown]
	v_add_f16_e32 v73, v92, v71
	v_add_f16_e32 v89, v96, v86
	v_fma_f16 v70, v3, v70, -v72
	v_fma_f16 v7, v0, v67, -v7
	v_fmac_f16_e32 v62, v3, v68
	v_add_f16_e32 v0, v73, v93
	v_add_f16_e32 v3, v89, v97
	v_fma_f16 v1, v1, v69, -v64
	v_sub_f16_e32 v67, v92, v70
	v_fma_f16 v2, v2, v87, -v61
	v_add_f16_e32 v0, v0, v94
	v_add_f16_e32 v3, v3, v98
	v_add_f16_e32 v64, v96, v62
	v_mul_f16_e32 v68, 0xb770, v67
	v_mul_f16_e32 v61, 0xba95, v67
	v_add_f16_e32 v0, v0, v60
	v_add_f16_e32 v3, v3, v26
	v_mul_f16_e32 v72, 0xbbf1, v67
	v_mul_f16_e32 v89, 0xbb7b, v67
	;; [unrolled: 1-line block ×3, first 2 shown]
	v_add_f16_e32 v0, v0, v11
	v_add_f16_e32 v3, v3, v10
	v_mul_f16_e32 v67, 0xb3a8, v67
	v_fmamk_f16 v69, v64, 0x3b15, v68
	v_fma_f16 v68, v64, 0x3b15, -v68
	v_add_f16_e32 v0, v0, v9
	v_add_f16_e32 v3, v3, v8
	v_fmamk_f16 v73, v64, 0x388b, v61
	v_fma_f16 v61, v64, 0x388b, -v61
	v_fmamk_f16 v87, v64, 0x2fb7, v72
	v_add_f16_e32 v0, v0, v5
	v_add_f16_e32 v3, v3, v4
	v_fma_f16 v72, v64, 0x2fb7, -v72
	v_fmamk_f16 v91, v64, 0xb5ac, v89
	v_fma_f16 v89, v64, 0xb5ac, -v89
	v_add_f16_e32 v0, v0, v25
	v_add_f16_e32 v3, v3, v6
	v_fmamk_f16 v95, v64, 0xb9fd, v90
	v_fma_f16 v90, v64, 0xb9fd, -v90
	v_fmamk_f16 v99, v64, 0xbbc4, v67
	v_add_f16_e32 v0, v0, v7
	v_add_f16_e32 v3, v3, v66
	v_fma_f16 v64, v64, 0xbbc4, -v67
	v_add_f16_e32 v67, v69, v86
	v_add_f16_e32 v68, v68, v86
	;; [unrolled: 1-line block ×17, first 2 shown]
	v_lshlrev_b32_e32 v0, 16, v0
	v_and_b32_e32 v3, 0xffff, v3
	v_sub_f16_e32 v62, v96, v62
	v_mul_f16_e32 v92, 0x3b15, v70
	v_add_f16_e32 v95, v99, v86
	v_add_f16_e32 v64, v64, v86
	v_mul_f16_e32 v86, 0x388b, v70
	v_mul_f16_e32 v96, 0x2fb7, v70
	v_or_b32_e32 v0, v0, v3
	v_fmamk_f16 v3, v62, 0x3770, v92
	v_fmac_f16_e32 v92, 0xb770, v62
	v_fmamk_f16 v99, v62, 0x3a95, v86
	v_mul_f16_e32 v100, 0xb5ac, v70
	v_fmamk_f16 v101, v62, 0x3bf1, v96
	v_mul_f16_e32 v102, 0xb9fd, v70
	v_mul_f16_e32 v70, 0xbbc4, v70
	v_fmac_f16_e32 v86, 0xba95, v62
	v_fmac_f16_e32 v96, 0xbbf1, v62
	v_fmamk_f16 v103, v62, 0x3b7b, v100
	v_fmac_f16_e32 v100, 0xbb7b, v62
	v_fmamk_f16 v104, v62, 0x394e, v102
	;; [unrolled: 2-line block ×3, first 2 shown]
	v_fmac_f16_e32 v70, 0xb3a8, v62
	v_add_f16_e32 v62, v92, v71
	v_add_f16_e32 v92, v99, v71
	;; [unrolled: 1-line block ×3, first 2 shown]
	v_sub_f16_e32 v101, v93, v2
	v_add_f16_e32 v2, v93, v2
	v_add_f16_e32 v93, v97, v65
	v_sub_f16_e32 v65, v97, v65
	v_add_f16_e32 v3, v3, v71
	v_mul_f16_e32 v106, 0xba95, v101
	v_mul_f16_e32 v97, 0x388b, v2
	v_add_f16_e32 v86, v86, v71
	v_add_f16_e32 v96, v96, v71
	;; [unrolled: 1-line block ×5, first 2 shown]
	v_fmamk_f16 v107, v93, 0x388b, v106
	v_add_f16_e32 v102, v102, v71
	v_add_f16_e32 v105, v105, v71
	;; [unrolled: 1-line block ×3, first 2 shown]
	v_fmamk_f16 v71, v65, 0x3a95, v97
	v_add_f16_e32 v67, v107, v67
	v_mul_f16_e32 v107, 0xbb7b, v101
	v_fma_f16 v106, v93, 0x388b, -v106
	v_fmac_f16_e32 v97, 0xba95, v65
	v_add_f16_e32 v3, v71, v3
	v_mul_f16_e32 v71, 0xb5ac, v2
	v_fmamk_f16 v108, v93, 0xb5ac, v107
	v_add_f16_e32 v68, v106, v68
	v_add_f16_e32 v62, v97, v62
	v_mul_f16_e32 v97, 0xb3a8, v101
	v_fmamk_f16 v106, v65, 0x3b7b, v71
	v_add_f16_e32 v69, v108, v69
	v_fma_f16 v107, v93, 0xb5ac, -v107
	v_fmac_f16_e32 v71, 0xbb7b, v65
	v_fmamk_f16 v108, v93, 0xbbc4, v97
	v_add_f16_e32 v92, v106, v92
	v_mul_f16_e32 v106, 0xbbc4, v2
	v_add_f16_e32 v61, v107, v61
	v_add_f16_e32 v71, v71, v86
	;; [unrolled: 1-line block ×3, first 2 shown]
	v_mul_f16_e32 v86, 0x394e, v101
	v_fmamk_f16 v107, v65, 0x33a8, v106
	v_fma_f16 v97, v93, 0xbbc4, -v97
	v_fmac_f16_e32 v106, 0xb3a8, v65
	v_mul_f16_e32 v108, 0xb9fd, v2
	v_fmamk_f16 v109, v93, 0xb9fd, v86
	v_add_f16_e32 v99, v107, v99
	v_add_f16_e32 v72, v97, v72
	;; [unrolled: 1-line block ×3, first 2 shown]
	v_fmamk_f16 v97, v65, 0xb94e, v108
	v_fma_f16 v86, v93, 0xb9fd, -v86
	v_mul_f16_e32 v106, 0x3bf1, v101
	v_mul_f16_e32 v107, 0x2fb7, v2
	;; [unrolled: 1-line block ×3, first 2 shown]
	v_add_f16_e32 v97, v97, v103
	v_add_f16_e32 v86, v86, v89
	v_fmamk_f16 v89, v93, 0x2fb7, v106
	v_fmamk_f16 v103, v65, 0xbbf1, v107
	v_fma_f16 v106, v93, 0x2fb7, -v106
	v_mul_f16_e32 v2, 0x3b15, v2
	v_fmac_f16_e32 v108, 0x394e, v65
	v_add_f16_e32 v89, v89, v91
	v_add_f16_e32 v91, v103, v104
	v_fmamk_f16 v103, v93, 0x3b15, v101
	v_fma_f16 v93, v93, 0x3b15, -v101
	v_sub_f16_e32 v101, v94, v1
	v_add_f16_e32 v1, v94, v1
	v_fmac_f16_e32 v107, 0x3bf1, v65
	v_fmamk_f16 v104, v65, 0xb770, v2
	v_fmac_f16_e32 v2, 0x3770, v65
	v_add_f16_e32 v65, v98, v88
	v_sub_f16_e32 v88, v98, v88
	v_mul_f16_e32 v98, 0x2fb7, v1
	v_mul_f16_e32 v94, 0xbbf1, v101
	v_add_f16_e32 v2, v2, v70
	v_add_f16_e32 v95, v103, v95
	;; [unrolled: 1-line block ×3, first 2 shown]
	v_fmamk_f16 v70, v88, 0x3bf1, v98
	v_fmamk_f16 v103, v65, 0x2fb7, v94
	v_mul_f16_e32 v93, 0xb3a8, v101
	v_fma_f16 v94, v65, 0x2fb7, -v94
	v_fmac_f16_e32 v98, 0xbbf1, v88
	v_add_f16_e32 v3, v70, v3
	v_mul_f16_e32 v70, 0xbbc4, v1
	v_add_f16_e32 v67, v103, v67
	v_fmamk_f16 v103, v65, 0xbbc4, v93
	v_add_f16_e32 v68, v94, v68
	v_add_f16_e32 v62, v98, v62
	v_mul_f16_e32 v94, 0x3b7b, v101
	v_fmamk_f16 v98, v88, 0x33a8, v70
	v_add_f16_e32 v69, v103, v69
	v_fma_f16 v93, v65, 0xbbc4, -v93
	v_fmac_f16_e32 v70, 0xb3a8, v88
	v_fmamk_f16 v103, v65, 0xb5ac, v94
	v_add_f16_e32 v92, v98, v92
	v_mul_f16_e32 v98, 0xb5ac, v1
	v_add_f16_e32 v61, v93, v61
	v_add_f16_e32 v70, v70, v71
	;; [unrolled: 1-line block ×3, first 2 shown]
	v_mul_f16_e32 v73, 0x3770, v101
	v_fmamk_f16 v93, v88, 0xbb7b, v98
	v_fma_f16 v94, v65, 0xb5ac, -v94
	v_fmac_f16_e32 v98, 0x3b7b, v88
	v_mul_f16_e32 v103, 0x3b15, v1
	v_add_f16_e32 v104, v104, v105
	v_fmamk_f16 v105, v65, 0x3b15, v73
	v_add_f16_e32 v93, v93, v99
	v_add_f16_e32 v72, v94, v72
	;; [unrolled: 1-line block ×3, first 2 shown]
	v_fmamk_f16 v96, v88, 0xb770, v103
	v_fma_f16 v73, v65, 0x3b15, -v73
	v_mul_f16_e32 v98, 0xba95, v101
	v_mul_f16_e32 v99, 0x388b, v1
	v_add_f16_e32 v90, v106, v90
	v_add_f16_e32 v96, v96, v97
	;; [unrolled: 1-line block ×3, first 2 shown]
	v_fmamk_f16 v86, v65, 0x388b, v98
	v_fmamk_f16 v97, v88, 0x3a95, v99
	v_fma_f16 v98, v65, 0x388b, -v98
	v_mul_f16_e32 v101, 0xb94e, v101
	v_mul_f16_e32 v1, 0xb9fd, v1
	v_add_f16_e32 v86, v86, v89
	v_add_f16_e32 v89, v97, v91
	v_sub_f16_e32 v97, v60, v7
	v_add_f16_e32 v7, v60, v7
	v_fmac_f16_e32 v103, 0x3770, v88
	v_add_f16_e32 v90, v98, v90
	v_fmamk_f16 v91, v65, 0xb9fd, v101
	v_fmac_f16_e32 v99, 0xba95, v88
	v_fmamk_f16 v98, v88, 0x394e, v1
	v_fmac_f16_e32 v1, 0xb94e, v88
	v_add_f16_e32 v60, v26, v66
	v_mul_f16_e32 v88, 0xbb7b, v97
	v_sub_f16_e32 v26, v26, v66
	v_mul_f16_e32 v66, 0xb5ac, v7
	v_fma_f16 v65, v65, 0xb9fd, -v101
	v_add_f16_e32 v91, v91, v95
	v_fmamk_f16 v95, v60, 0xb5ac, v88
	v_add_f16_e32 v1, v1, v2
	v_fmamk_f16 v2, v26, 0x3b7b, v66
	v_add_f16_e32 v64, v65, v64
	v_fma_f16 v88, v60, 0xb5ac, -v88
	v_add_f16_e32 v65, v95, v67
	v_mul_f16_e32 v67, 0x394e, v97
	v_fmac_f16_e32 v66, 0xbb7b, v26
	v_add_f16_e32 v2, v2, v3
	v_mul_f16_e32 v3, 0xb9fd, v7
	v_add_f16_e32 v68, v88, v68
	v_fmamk_f16 v95, v60, 0xb9fd, v67
	v_add_f16_e32 v62, v66, v62
	v_mul_f16_e32 v66, 0x3770, v97
	v_fmamk_f16 v88, v26, 0xb94e, v3
	v_fma_f16 v67, v60, 0xb9fd, -v67
	v_add_f16_e32 v69, v95, v69
	v_fmac_f16_e32 v3, 0x394e, v26
	v_fmamk_f16 v95, v60, 0x3b15, v66
	v_add_f16_e32 v88, v88, v92
	v_mul_f16_e32 v92, 0x3b15, v7
	v_add_f16_e32 v61, v67, v61
	v_add_f16_e32 v3, v3, v70
	;; [unrolled: 1-line block ×3, first 2 shown]
	v_mul_f16_e32 v70, 0xbbf1, v97
	v_fmamk_f16 v71, v26, 0xb770, v92
	v_fma_f16 v66, v60, 0x3b15, -v66
	v_fmac_f16_e32 v92, 0x3770, v26
	v_mul_f16_e32 v95, 0x2fb7, v7
	v_fmamk_f16 v101, v60, 0x2fb7, v70
	v_add_f16_e32 v71, v71, v93
	v_add_f16_e32 v66, v66, v72
	v_add_f16_e32 v72, v92, v94
	v_fmamk_f16 v92, v26, 0x3bf1, v95
	v_fma_f16 v70, v60, 0x2fb7, -v70
	v_mul_f16_e32 v93, 0x33a8, v97
	v_mul_f16_e32 v94, 0xbbc4, v7
	;; [unrolled: 1-line block ×3, first 2 shown]
	v_add_f16_e32 v92, v92, v96
	v_add_f16_e32 v70, v70, v73
	v_fmamk_f16 v73, v60, 0xbbc4, v93
	v_fmamk_f16 v96, v26, 0xb3a8, v94
	v_fma_f16 v93, v60, 0xbbc4, -v93
	v_mul_f16_e32 v7, 0x388b, v7
	v_fmac_f16_e32 v95, 0xbbf1, v26
	v_add_f16_e32 v73, v73, v86
	v_add_f16_e32 v86, v96, v89
	;; [unrolled: 1-line block ×3, first 2 shown]
	v_sub_f16_e32 v93, v11, v25
	v_add_f16_e32 v11, v11, v25
	v_fmamk_f16 v90, v60, 0x388b, v97
	v_fmac_f16_e32 v94, 0x33a8, v26
	v_fmamk_f16 v96, v26, 0xba95, v7
	v_fmac_f16_e32 v7, 0x3a95, v26
	v_add_f16_e32 v25, v10, v6
	v_mul_f16_e32 v26, 0xb94e, v93
	v_sub_f16_e32 v6, v10, v6
	v_mul_f16_e32 v10, 0xb9fd, v11
	v_fma_f16 v60, v60, 0x388b, -v97
	v_add_f16_e32 v90, v90, v91
	v_fmamk_f16 v91, v25, 0xb9fd, v26
	v_add_f16_e32 v1, v7, v1
	v_fmamk_f16 v7, v6, 0x394e, v10
	v_add_f16_e32 v60, v60, v64
	v_fma_f16 v26, v25, 0xb9fd, -v26
	v_add_f16_e32 v64, v91, v65
	v_mul_f16_e32 v65, 0x3bf1, v93
	v_fmac_f16_e32 v10, 0xb94e, v6
	v_add_f16_e32 v2, v7, v2
	v_mul_f16_e32 v7, 0x2fb7, v11
	v_add_f16_e32 v87, v109, v87
	v_fmamk_f16 v91, v25, 0x2fb7, v65
	v_add_f16_e32 v26, v26, v68
	v_add_f16_e32 v10, v10, v62
	v_mul_f16_e32 v62, 0xba95, v93
	v_fmamk_f16 v68, v6, 0xbbf1, v7
	v_fma_f16 v65, v25, 0x2fb7, -v65
	v_add_f16_e32 v100, v108, v100
	v_add_f16_e32 v87, v105, v87
	;; [unrolled: 1-line block ×3, first 2 shown]
	v_fmac_f16_e32 v7, 0x3bf1, v6
	v_fmamk_f16 v91, v25, 0x388b, v62
	v_add_f16_e32 v68, v68, v88
	v_mul_f16_e32 v88, 0x388b, v11
	v_add_f16_e32 v61, v65, v61
	v_mul_f16_e32 v65, 0x33a8, v93
	v_add_f16_e32 v100, v103, v100
	v_add_f16_e32 v87, v101, v87
	;; [unrolled: 1-line block ×4, first 2 shown]
	v_fmamk_f16 v67, v6, 0x3a95, v88
	v_fma_f16 v62, v25, 0x388b, -v62
	v_fmac_f16_e32 v88, 0xba95, v6
	v_mul_f16_e32 v91, 0xbbc4, v11
	v_fmamk_f16 v97, v25, 0xbbc4, v65
	v_add_f16_e32 v95, v95, v100
	v_add_f16_e32 v67, v67, v71
	;; [unrolled: 1-line block ×4, first 2 shown]
	v_fmamk_f16 v71, v6, 0xb3a8, v91
	v_add_f16_e32 v72, v97, v87
	v_fma_f16 v65, v25, 0xbbc4, -v65
	v_fmac_f16_e32 v91, 0x33a8, v6
	v_mul_f16_e32 v87, 0x3770, v93
	v_add_f16_e32 v71, v71, v92
	v_mul_f16_e32 v92, 0xbb7b, v93
	v_add_f16_e32 v65, v65, v70
	v_add_f16_e32 v70, v91, v95
	v_fmamk_f16 v91, v25, 0x3b15, v87
	v_fma_f16 v87, v25, 0x3b15, -v87
	v_mul_f16_e32 v88, 0x3b15, v11
	v_mul_f16_e32 v11, 0xb5ac, v11
	v_add_f16_e32 v102, v107, v102
	v_add_f16_e32 v73, v91, v73
	v_fmamk_f16 v91, v25, 0xb5ac, v92
	v_add_f16_e32 v87, v87, v89
	v_sub_f16_e32 v89, v9, v5
	v_fma_f16 v25, v25, 0xb5ac, -v92
	v_add_f16_e32 v5, v9, v5
	v_add_f16_e32 v90, v91, v90
	;; [unrolled: 1-line block ×3, first 2 shown]
	v_mul_f16_e32 v92, 0xb3a8, v89
	v_fmamk_f16 v93, v6, 0xb770, v88
	v_fmac_f16_e32 v88, 0x3770, v6
	v_fmamk_f16 v9, v6, 0x3b7b, v11
	v_fmac_f16_e32 v11, 0xbb7b, v6
	v_sub_f16_e32 v4, v8, v4
	v_fmamk_f16 v6, v91, 0xbbc4, v92
	v_mul_f16_e32 v8, 0xbbc4, v5
	v_add_f16_e32 v25, v25, v60
	v_add_f16_e32 v1, v11, v1
	v_mul_f16_e32 v60, 0x3770, v89
	v_add_f16_e32 v6, v6, v64
	v_fmamk_f16 v11, v4, 0x33a8, v8
	v_fma_f16 v64, v91, 0xbbc4, -v92
	v_fmac_f16_e32 v8, 0xb3a8, v4
	v_mul_f16_e32 v92, 0x3b15, v5
	v_add_f16_e32 v86, v93, v86
	v_add_f16_e32 v2, v11, v2
	v_fmamk_f16 v11, v91, 0x3b15, v60
	v_add_f16_e32 v26, v64, v26
	v_add_f16_e32 v8, v8, v10
	v_fmamk_f16 v10, v4, 0xb770, v92
	v_mul_f16_e32 v64, 0xb94e, v89
	v_add_f16_e32 v11, v11, v69
	v_fma_f16 v60, v91, 0x3b15, -v60
	v_mul_f16_e32 v69, 0xb9fd, v5
	v_add_f16_e32 v10, v10, v68
	v_fmamk_f16 v68, v91, 0xb9fd, v64
	v_fmac_f16_e32 v92, 0x3770, v4
	v_add_f16_e32 v60, v60, v61
	v_mul_f16_e32 v61, 0x3a95, v89
	v_fma_f16 v64, v91, 0xb9fd, -v64
	v_add_f16_e32 v7, v68, v7
	v_fmamk_f16 v68, v4, 0x394e, v69
	v_fmac_f16_e32 v69, 0xb94e, v4
	v_mul_f16_e32 v93, 0x388b, v5
	v_add_f16_e32 v3, v92, v3
	v_fmamk_f16 v92, v91, 0x388b, v61
	v_add_f16_e32 v67, v68, v67
	v_add_f16_e32 v62, v64, v62
	;; [unrolled: 1-line block ×3, first 2 shown]
	v_fmamk_f16 v68, v4, 0xba95, v93
	v_mul_f16_e32 v69, 0xbb7b, v89
	v_add_f16_e32 v99, v99, v102
	v_add_f16_e32 v98, v98, v104
	;; [unrolled: 1-line block ×3, first 2 shown]
	v_fma_f16 v61, v91, 0x388b, -v61
	v_fmac_f16_e32 v93, 0x3a95, v4
	v_mul_f16_e32 v72, 0xb5ac, v5
	v_add_f16_e32 v68, v68, v71
	v_fmamk_f16 v71, v91, 0xb5ac, v69
	v_add_f16_e32 v94, v94, v99
	v_add_f16_e32 v96, v96, v98
	;; [unrolled: 1-line block ×4, first 2 shown]
	v_fmamk_f16 v70, v4, 0x3b7b, v72
	v_fma_f16 v69, v91, 0xb5ac, -v69
	v_add_f16_e32 v71, v71, v73
	v_mul_f16_e32 v73, 0x3bf1, v89
	v_mul_f16_e32 v5, 0x2fb7, v5
	v_add_f16_e32 v88, v88, v94
	v_add_f16_e32 v9, v9, v96
	;; [unrolled: 1-line block ×4, first 2 shown]
	v_fmac_f16_e32 v72, 0xbb7b, v4
	v_fmamk_f16 v86, v91, 0x2fb7, v73
	v_fmamk_f16 v87, v4, 0xbbf1, v5
	v_fma_f16 v73, v91, 0x2fb7, -v73
	v_fmac_f16_e32 v5, 0x3bf1, v4
	v_pack_b32_f16 v2, v6, v2
	v_add_f16_e32 v4, v72, v88
	v_add_f16_e32 v72, v86, v90
	;; [unrolled: 1-line block ×5, first 2 shown]
	v_pack_b32_f16 v5, v11, v10
	v_pack_b32_f16 v6, v7, v67
	global_wb scope:SCOPE_SE
	s_barrier_signal -1
	s_barrier_wait -1
	global_inv scope:SCOPE_SE
	ds_store_2addr_b32 v63, v0, v2 offset1:13
	ds_store_2addr_b32 v63, v5, v6 offset0:26 offset1:39
	v_pack_b32_f16 v0, v66, v68
	v_pack_b32_f16 v2, v71, v70
	;; [unrolled: 1-line block ×9, first 2 shown]
	ds_store_2addr_b32 v63, v0, v2 offset0:52 offset1:65
	ds_store_2addr_b32 v63, v5, v1 offset0:78 offset1:91
	;; [unrolled: 1-line block ×4, first 2 shown]
	ds_store_b32 v63, v8 offset:624
	global_wb scope:SCOPE_SE
	s_wait_dscnt 0x0
	s_barrier_signal -1
	s_barrier_wait -1
	global_inv scope:SCOPE_SE
	ds_load_2addr_b32 v[7:8], v28 offset1:169
	ds_load_2addr_b32 v[0:1], v56 offset0:82 offset1:251
	ds_load_2addr_b32 v[2:3], v51 offset0:36 offset1:205
	;; [unrolled: 1-line block ×5, first 2 shown]
	ds_load_b32 v11, v28 offset:8112
	s_wait_dscnt 0x6
	v_lshrrev_b32_e32 v4, 16, v8
	s_wait_dscnt 0x5
	v_lshrrev_b32_e32 v5, 16, v0
	;; [unrolled: 2-line block ×3, first 2 shown]
	v_mul_f16_e32 v72, v85, v8
	v_mul_f16_e32 v73, v84, v0
	;; [unrolled: 1-line block ×3, first 2 shown]
	v_lshrrev_b32_e32 v6, 16, v1
	v_lshrrev_b32_e32 v63, 16, v3
	s_wait_dscnt 0x3
	v_lshrrev_b32_e32 v64, 16, v9
	v_lshrrev_b32_e32 v65, 16, v10
	v_fmac_f16_e32 v68, v16, v8
	v_mul_f16_e32 v8, v84, v5
	v_fma_f16 v16, v16, v4, -v72
	v_mul_f16_e32 v72, v82, v62
	v_mul_f16_e32 v84, v83, v6
	;; [unrolled: 1-line block ×3, first 2 shown]
	v_fmac_f16_e32 v8, v17, v0
	v_fma_f16 v17, v17, v5, -v73
	v_mul_f16_e32 v0, v82, v2
	v_lshrrev_b32_e32 v73, 16, v7
	v_fmac_f16_e32 v72, v19, v2
	v_add_f16_e32 v2, v68, v7
	v_fmac_f16_e32 v84, v18, v1
	v_fma_f16 v19, v19, v62, -v0
	v_add_f16_e32 v0, v16, v73
	v_fma_f16 v18, v18, v6, -v4
	v_mul_f16_e32 v1, v81, v3
	v_add_f16_e32 v4, v2, v8
	v_mul_f16_e32 v5, v81, v63
	v_add_f16_e32 v0, v0, v17
	s_wait_dscnt 0x2
	v_lshrrev_b32_e32 v66, 16, v25
	v_fma_f16 v6, v12, v63, -v1
	v_mul_f16_e32 v1, v80, v64
	v_add_f16_e32 v4, v4, v84
	v_add_f16_e32 v0, v0, v18
	v_fmac_f16_e32 v5, v12, v3
	v_mul_f16_e32 v3, v80, v9
	v_fmac_f16_e32 v1, v13, v9
	v_mul_f16_e32 v9, v79, v10
	v_add_f16_e32 v0, v0, v19
	v_add_f16_e32 v12, v4, v72
	v_mul_f16_e32 v2, v79, v65
	v_fma_f16 v3, v13, v64, -v3
	v_fma_f16 v4, v14, v65, -v9
	v_add_f16_e32 v0, v0, v6
	v_add_f16_e32 v9, v12, v5
	v_lshrrev_b32_e32 v67, 16, v26
	v_fmac_f16_e32 v2, v14, v10
	v_mul_f16_e32 v10, v78, v66
	v_mul_f16_e32 v13, v78, v25
	v_add_f16_e32 v0, v0, v3
	v_add_f16_e32 v9, v9, v1
	s_wait_dscnt 0x1
	v_lshrrev_b32_e32 v69, 16, v60
	v_lshrrev_b32_e32 v70, 16, v61
	v_fmac_f16_e32 v10, v15, v25
	v_fma_f16 v12, v15, v66, -v13
	v_mul_f16_e32 v13, v77, v67
	v_mul_f16_e32 v14, v77, v26
	v_add_f16_e32 v0, v0, v4
	v_add_f16_e32 v9, v9, v2
	v_mul_f16_e32 v15, v76, v69
	v_fmac_f16_e32 v13, v20, v26
	v_fma_f16 v14, v20, v67, -v14
	v_mul_f16_e32 v20, v76, v60
	v_mul_f16_e32 v25, v75, v70
	v_add_f16_e32 v0, v0, v12
	v_add_f16_e32 v9, v9, v10
	v_mul_f16_e32 v26, v75, v61
	s_wait_dscnt 0x0
	v_lshrrev_b32_e32 v71, 16, v11
	v_fmac_f16_e32 v15, v21, v60
	v_fma_f16 v20, v21, v69, -v20
	v_fmac_f16_e32 v25, v22, v61
	v_add_f16_e32 v0, v0, v14
	v_add_f16_e32 v9, v9, v13
	v_fma_f16 v21, v22, v70, -v26
	v_mul_f16_e32 v22, v74, v11
	v_mul_f16_e32 v26, v74, v71
	v_add_f16_e32 v0, v0, v20
	v_add_f16_e32 v9, v9, v15
	v_sub_f16_e32 v81, v17, v21
	v_fma_f16 v22, v23, v71, -v22
	v_fmac_f16_e32 v26, v23, v11
	v_add_f16_e32 v0, v0, v21
	v_add_f16_e32 v9, v9, v25
	v_add_f16_e32 v83, v8, v25
	v_sub_f16_e32 v11, v16, v22
	v_add_f16_e32 v23, v68, v26
	v_add_f16_e32 v0, v0, v22
	;; [unrolled: 1-line block ×4, first 2 shown]
	v_mul_f16_e32 v60, 0xb770, v11
	v_sub_f16_e32 v22, v68, v26
	v_lshlrev_b32_e32 v0, 16, v0
	v_and_b32_e32 v9, 0xffff, v9
	v_mul_f16_e32 v61, 0x3b15, v16
	v_fmamk_f16 v26, v23, 0x3b15, v60
	v_mul_f16_e32 v62, 0xba95, v11
	v_mul_f16_e32 v63, 0x388b, v16
	;; [unrolled: 1-line block ×11, first 2 shown]
	v_add_f16_e32 v17, v17, v21
	v_or_b32_e32 v0, v0, v9
	v_add_f16_e32 v9, v26, v7
	v_fmamk_f16 v26, v22, 0x3770, v61
	v_fma_f16 v60, v23, 0x3b15, -v60
	v_fmac_f16_e32 v61, 0xb770, v22
	v_fmamk_f16 v64, v23, 0x388b, v62
	v_fmamk_f16 v65, v22, 0x3a95, v63
	v_fma_f16 v62, v23, 0x388b, -v62
	v_fmac_f16_e32 v63, 0xba95, v22
	v_fmamk_f16 v67, v23, 0x2fb7, v66
	;; [unrolled: 4-line block ×5, first 2 shown]
	v_fmamk_f16 v82, v22, 0x33a8, v16
	v_fma_f16 v11, v23, 0xbbc4, -v11
	v_fmac_f16_e32 v16, 0xb3a8, v22
	v_sub_f16_e32 v8, v8, v25
	v_fmamk_f16 v21, v83, 0x388b, v85
	v_mul_f16_e32 v22, 0x388b, v17
	v_add_f16_e32 v26, v26, v73
	v_add_f16_e32 v60, v60, v7
	;; [unrolled: 1-line block ×24, first 2 shown]
	v_fmamk_f16 v16, v8, 0x3a95, v22
	v_mul_f16_e32 v21, 0xbb7b, v81
	v_fma_f16 v25, v83, 0x388b, -v85
	v_fmac_f16_e32 v22, 0xba95, v8
	v_mul_f16_e32 v73, 0xb5ac, v17
	v_add_f16_e32 v16, v16, v26
	v_fmamk_f16 v26, v83, 0xb5ac, v21
	v_add_f16_e32 v25, v25, v60
	v_add_f16_e32 v22, v22, v61
	v_fmamk_f16 v60, v8, 0x3b7b, v73
	v_mul_f16_e32 v61, 0xb3a8, v81
	v_add_f16_e32 v26, v26, v64
	v_fma_f16 v21, v83, 0xb5ac, -v21
	v_fmac_f16_e32 v73, 0xbb7b, v8
	v_add_f16_e32 v60, v60, v65
	v_fmamk_f16 v64, v83, 0xbbc4, v61
	v_mul_f16_e32 v65, 0xbbc4, v17
	v_add_f16_e32 v21, v21, v62
	v_add_f16_e32 v62, v73, v63
	v_mul_f16_e32 v63, 0x394e, v81
	v_add_f16_e32 v64, v64, v67
	v_fmamk_f16 v67, v8, 0x33a8, v65
	v_fmac_f16_e32 v65, 0xb3a8, v8
	v_mul_f16_e32 v82, 0xb9fd, v17
	v_fma_f16 v61, v83, 0xbbc4, -v61
	v_fmamk_f16 v73, v83, 0xb9fd, v63
	v_add_f16_e32 v67, v67, v70
	v_add_f16_e32 v65, v65, v68
	v_fmamk_f16 v68, v8, 0xb94e, v82
	v_mul_f16_e32 v70, 0x3bf1, v81
	v_add_f16_e32 v61, v61, v66
	v_add_f16_e32 v66, v73, v71
	v_fma_f16 v63, v83, 0xb9fd, -v63
	v_mul_f16_e32 v71, 0x2fb7, v17
	v_add_f16_e32 v68, v68, v75
	v_fmamk_f16 v73, v83, 0x2fb7, v70
	v_mul_f16_e32 v75, 0x3770, v81
	v_fma_f16 v70, v83, 0x2fb7, -v70
	v_add_f16_e32 v63, v63, v69
	v_fmamk_f16 v69, v8, 0xbbf1, v71
	v_add_f16_e32 v73, v73, v78
	v_fmac_f16_e32 v71, 0x3bf1, v8
	v_fmamk_f16 v78, v83, 0x3b15, v75
	v_add_f16_e32 v70, v70, v76
	v_sub_f16_e32 v76, v18, v20
	v_add_f16_e32 v69, v69, v79
	v_mul_f16_e32 v17, 0x3b15, v17
	v_add_f16_e32 v71, v71, v77
	v_add_f16_e32 v77, v78, v80
	;; [unrolled: 1-line block ×3, first 2 shown]
	v_mul_f16_e32 v80, 0xbbf1, v76
	v_add_f16_e32 v18, v18, v20
	v_fmac_f16_e32 v82, 0x394e, v8
	v_fmamk_f16 v78, v8, 0xb770, v17
	v_fma_f16 v20, v83, 0x3b15, -v75
	v_fmac_f16_e32 v17, 0x3770, v8
	v_sub_f16_e32 v8, v84, v15
	v_fmamk_f16 v15, v79, 0x2fb7, v80
	v_mul_f16_e32 v75, 0x2fb7, v18
	v_add_f16_e32 v23, v78, v23
	v_add_f16_e32 v7, v20, v7
	;; [unrolled: 1-line block ×4, first 2 shown]
	v_fmamk_f16 v15, v8, 0x3bf1, v75
	v_mul_f16_e32 v17, 0xb3a8, v76
	v_fma_f16 v20, v79, 0x2fb7, -v80
	v_fmac_f16_e32 v75, 0xbbf1, v8
	v_mul_f16_e32 v78, 0xbbc4, v18
	v_add_f16_e32 v15, v15, v16
	v_fmamk_f16 v16, v79, 0xbbc4, v17
	v_add_f16_e32 v20, v20, v25
	v_add_f16_e32 v22, v75, v22
	v_fmamk_f16 v25, v8, 0x33a8, v78
	v_mul_f16_e32 v75, 0x3b7b, v76
	v_fma_f16 v17, v79, 0xbbc4, -v17
	v_fmac_f16_e32 v78, 0xb3a8, v8
	v_add_f16_e32 v16, v16, v26
	v_add_f16_e32 v25, v25, v60
	v_fmamk_f16 v26, v79, 0xb5ac, v75
	v_mul_f16_e32 v60, 0xb5ac, v18
	v_add_f16_e32 v17, v17, v21
	v_add_f16_e32 v21, v78, v62
	v_mul_f16_e32 v62, 0x3770, v76
	v_add_f16_e32 v26, v26, v64
	v_fmamk_f16 v64, v8, 0xbb7b, v60
	v_fma_f16 v75, v79, 0xb5ac, -v75
	v_fmac_f16_e32 v60, 0x3b7b, v8
	v_fmamk_f16 v78, v79, 0x3b15, v62
	v_mul_f16_e32 v80, 0x3b15, v18
	v_add_f16_e32 v64, v64, v67
	v_add_f16_e32 v61, v75, v61
	;; [unrolled: 1-line block ×4, first 2 shown]
	v_fmamk_f16 v66, v8, 0xb770, v80
	v_mul_f16_e32 v67, 0xba95, v76
	v_fma_f16 v62, v79, 0x3b15, -v62
	v_mul_f16_e32 v75, 0x388b, v18
	v_mul_f16_e32 v76, 0xb94e, v76
	v_add_f16_e32 v66, v66, v68
	v_fmamk_f16 v68, v79, 0x388b, v67
	v_add_f16_e32 v62, v62, v63
	v_fmamk_f16 v63, v8, 0x3a95, v75
	v_fma_f16 v67, v79, 0x388b, -v67
	v_fmac_f16_e32 v75, 0xba95, v8
	v_mul_f16_e32 v18, 0xb9fd, v18
	v_fmac_f16_e32 v80, 0x3770, v8
	v_add_f16_e32 v63, v63, v69
	v_fmamk_f16 v69, v79, 0xb9fd, v76
	v_add_f16_e32 v67, v67, v70
	v_sub_f16_e32 v70, v19, v14
	v_add_f16_e32 v71, v75, v71
	v_add_f16_e32 v75, v72, v13
	;; [unrolled: 1-line block ×4, first 2 shown]
	v_mul_f16_e32 v77, 0xbb7b, v70
	v_add_f16_e32 v68, v68, v73
	v_fmamk_f16 v73, v8, 0x394e, v18
	v_fmac_f16_e32 v18, 0xb94e, v8
	v_sub_f16_e32 v8, v72, v13
	v_fmamk_f16 v13, v75, 0xb5ac, v77
	v_mul_f16_e32 v72, 0xb5ac, v14
	v_fma_f16 v19, v79, 0xb9fd, -v76
	v_add_f16_e32 v11, v18, v11
	v_mul_f16_e32 v18, 0x394e, v70
	v_add_f16_e32 v9, v13, v9
	v_fmamk_f16 v13, v8, 0x3b7b, v72
	v_add_f16_e32 v23, v73, v23
	v_add_f16_e32 v7, v19, v7
	v_fma_f16 v19, v75, 0xb5ac, -v77
	v_fmac_f16_e32 v72, 0xbb7b, v8
	v_mul_f16_e32 v73, 0xb9fd, v14
	v_add_f16_e32 v13, v13, v15
	v_fmamk_f16 v15, v75, 0xb9fd, v18
	v_add_f16_e32 v19, v19, v20
	v_add_f16_e32 v20, v72, v22
	v_fmamk_f16 v22, v8, 0xb94e, v73
	v_mul_f16_e32 v72, 0x3770, v70
	v_add_f16_e32 v15, v15, v16
	v_fma_f16 v16, v75, 0xb9fd, -v18
	v_fmac_f16_e32 v73, 0x394e, v8
	v_add_f16_e32 v18, v22, v25
	v_fmamk_f16 v22, v75, 0x3b15, v72
	v_mul_f16_e32 v25, 0x3b15, v14
	v_add_f16_e32 v16, v16, v17
	v_add_f16_e32 v17, v73, v21
	v_mul_f16_e32 v21, 0xbbf1, v70
	v_add_f16_e32 v22, v22, v26
	v_fmamk_f16 v26, v8, 0xb770, v25
	v_fma_f16 v72, v75, 0x3b15, -v72
	v_fmac_f16_e32 v25, 0x3770, v8
	v_fmamk_f16 v73, v75, 0x2fb7, v21
	v_mul_f16_e32 v76, 0x2fb7, v14
	v_add_f16_e32 v26, v26, v64
	v_add_f16_e32 v61, v72, v61
	;; [unrolled: 1-line block ×4, first 2 shown]
	v_fmamk_f16 v64, v8, 0x3bf1, v76
	v_mul_f16_e32 v65, 0x33a8, v70
	v_mul_f16_e32 v72, 0xbbc4, v14
	v_mul_f16_e32 v70, 0x3a95, v70
	v_mul_f16_e32 v14, 0x388b, v14
	v_add_f16_e32 v64, v64, v66
	v_fmamk_f16 v66, v75, 0xbbc4, v65
	v_fmamk_f16 v73, v8, 0xb3a8, v72
	v_fma_f16 v65, v75, 0xbbc4, -v65
	v_fmac_f16_e32 v72, 0x33a8, v8
	v_fmac_f16_e32 v76, 0xbbf1, v8
	v_add_f16_e32 v66, v66, v68
	v_fmamk_f16 v68, v75, 0x388b, v70
	v_add_f16_e32 v65, v65, v67
	v_add_f16_e32 v67, v72, v71
	v_sub_f16_e32 v71, v6, v12
	v_add_f16_e32 v6, v6, v12
	v_add_f16_e32 v68, v68, v69
	v_fmamk_f16 v69, v8, 0xba95, v14
	v_add_f16_e32 v72, v5, v10
	v_mul_f16_e32 v12, 0xb94e, v71
	v_fmac_f16_e32 v14, 0x3a95, v8
	v_sub_f16_e32 v5, v5, v10
	v_mul_f16_e32 v8, 0xb9fd, v6
	v_add_f16_e32 v23, v69, v23
	v_fmamk_f16 v10, v72, 0xb9fd, v12
	v_add_f16_e32 v11, v14, v11
	v_fma_f16 v12, v72, 0xb9fd, -v12
	v_fmamk_f16 v14, v5, 0x394e, v8
	v_fmac_f16_e32 v8, 0xb94e, v5
	v_add_f16_e32 v9, v10, v9
	v_mul_f16_e32 v10, 0x3bf1, v71
	v_add_f16_e32 v12, v12, v19
	v_add_f16_e32 v13, v14, v13
	v_mul_f16_e32 v14, 0x2fb7, v6
	v_add_f16_e32 v8, v8, v20
	v_fmamk_f16 v69, v72, 0x2fb7, v10
	v_mul_f16_e32 v19, 0xba95, v71
	v_add_f16_e32 v74, v82, v74
	v_fmamk_f16 v20, v5, 0xbbf1, v14
	v_fmac_f16_e32 v14, 0x3bf1, v5
	v_fma_f16 v70, v75, 0x388b, -v70
	v_add_f16_e32 v15, v69, v15
	v_fma_f16 v10, v72, 0x2fb7, -v10
	v_fmamk_f16 v69, v72, 0x388b, v19
	v_add_f16_e32 v18, v20, v18
	v_mul_f16_e32 v20, 0x388b, v6
	v_add_f16_e32 v14, v14, v17
	v_mul_f16_e32 v17, 0x33a8, v71
	v_add_f16_e32 v74, v80, v74
	v_fma_f16 v21, v75, 0x2fb7, -v21
	v_add_f16_e32 v7, v70, v7
	v_add_f16_e32 v10, v10, v16
	;; [unrolled: 1-line block ×3, first 2 shown]
	v_fmamk_f16 v22, v5, 0x3a95, v20
	v_fmac_f16_e32 v20, 0xba95, v5
	v_mul_f16_e32 v69, 0xbbc4, v6
	v_fmamk_f16 v70, v72, 0xbbc4, v17
	v_add_f16_e32 v21, v21, v62
	v_add_f16_e32 v62, v76, v74
	v_add_f16_e32 v22, v22, v26
	v_add_f16_e32 v20, v20, v25
	v_fmamk_f16 v25, v5, 0xb3a8, v69
	v_add_f16_e32 v26, v70, v60
	v_mul_f16_e32 v60, 0x3770, v71
	v_fma_f16 v17, v72, 0xbbc4, -v17
	v_fmac_f16_e32 v69, 0x33a8, v5
	v_fma_f16 v19, v72, 0x388b, -v19
	v_add_f16_e32 v25, v25, v64
	v_fmamk_f16 v64, v72, 0x3b15, v60
	v_add_f16_e32 v17, v17, v21
	v_add_f16_e32 v21, v69, v62
	v_mul_f16_e32 v62, 0xbb7b, v71
	v_add_f16_e32 v19, v19, v61
	v_mul_f16_e32 v61, 0x3b15, v6
	v_add_f16_e32 v64, v64, v66
	v_fma_f16 v60, v72, 0x3b15, -v60
	v_fmamk_f16 v66, v72, 0xb5ac, v62
	v_mul_f16_e32 v6, 0xb5ac, v6
	v_fmamk_f16 v69, v5, 0xb770, v61
	v_fmac_f16_e32 v61, 0x3770, v5
	v_add_f16_e32 v60, v60, v65
	v_add_f16_e32 v65, v66, v68
	v_sub_f16_e32 v66, v3, v4
	v_add_f16_e32 v3, v3, v4
	v_add_f16_e32 v61, v61, v67
	v_fmamk_f16 v67, v5, 0x3b7b, v6
	v_fma_f16 v62, v72, 0xb5ac, -v62
	v_add_f16_e32 v4, v1, v2
	v_mul_f16_e32 v68, 0xb3a8, v66
	v_fmac_f16_e32 v6, 0xbb7b, v5
	v_sub_f16_e32 v1, v1, v2
	v_mul_f16_e32 v2, 0xbbc4, v3
	v_add_f16_e32 v5, v67, v23
	v_fmamk_f16 v23, v4, 0xbbc4, v68
	v_add_f16_e32 v7, v62, v7
	v_add_f16_e32 v6, v6, v11
	v_fmamk_f16 v11, v1, 0x33a8, v2
	v_mul_f16_e32 v62, 0x3770, v66
	v_add_f16_e32 v9, v23, v9
	v_fma_f16 v23, v4, 0xbbc4, -v68
	v_fmac_f16_e32 v2, 0xb3a8, v1
	v_add_f16_e32 v11, v11, v13
	v_fmamk_f16 v13, v4, 0x3b15, v62
	v_mul_f16_e32 v67, 0x3b15, v3
	v_add_f16_e32 v12, v23, v12
	v_add_f16_e32 v2, v2, v8
	v_mul_f16_e32 v8, 0xb94e, v66
	v_add_f16_e32 v13, v13, v15
	v_fmamk_f16 v15, v1, 0xb770, v67
	v_fma_f16 v23, v4, 0x3b15, -v62
	v_mul_f16_e32 v68, 0xb9fd, v3
	v_fmamk_f16 v62, v4, 0xb9fd, v8
	v_fmac_f16_e32 v67, 0x3770, v1
	v_add_f16_e32 v15, v15, v18
	v_add_f16_e32 v10, v23, v10
	v_fmamk_f16 v18, v1, 0x394e, v68
	v_mul_f16_e32 v23, 0x3a95, v66
	v_add_f16_e32 v16, v62, v16
	v_fma_f16 v8, v4, 0xb9fd, -v8
	v_fmac_f16_e32 v68, 0xb94e, v1
	v_mul_f16_e32 v62, 0x388b, v3
	v_add_f16_e32 v18, v18, v22
	v_fmamk_f16 v22, v4, 0x388b, v23
	v_add_f16_e32 v63, v73, v63
	v_add_f16_e32 v14, v67, v14
	;; [unrolled: 1-line block ×4, first 2 shown]
	v_fmamk_f16 v20, v1, 0xba95, v62
	v_mul_f16_e32 v67, 0xbb7b, v66
	v_add_f16_e32 v22, v22, v26
	v_fma_f16 v23, v4, 0x388b, -v23
	v_fmac_f16_e32 v62, 0x3a95, v1
	v_mul_f16_e32 v26, 0xb5ac, v3
	v_add_f16_e32 v63, v69, v63
	v_add_f16_e32 v20, v20, v25
	v_fmamk_f16 v25, v4, 0xb5ac, v67
	v_add_f16_e32 v17, v23, v17
	v_add_f16_e32 v21, v62, v21
	v_mul_f16_e32 v23, 0x3bf1, v66
	v_fmamk_f16 v62, v1, 0x3b7b, v26
	v_mul_f16_e32 v3, 0x2fb7, v3
	v_add_f16_e32 v25, v25, v64
	v_fma_f16 v64, v4, 0xb5ac, -v67
	v_fmac_f16_e32 v26, 0xbb7b, v1
	v_fmamk_f16 v66, v4, 0x2fb7, v23
	v_add_f16_e32 v62, v62, v63
	v_fmamk_f16 v63, v1, 0xbbf1, v3
	v_fma_f16 v4, v4, 0x2fb7, -v23
	v_fmac_f16_e32 v3, 0x3bf1, v1
	v_pack_b32_f16 v1, v9, v11
	v_add_f16_e32 v26, v26, v61
	v_add_f16_e32 v61, v66, v65
	v_pack_b32_f16 v9, v13, v15
	v_pack_b32_f16 v11, v16, v18
	v_add_f16_e32 v5, v63, v5
	v_add_f16_e32 v4, v4, v7
	;; [unrolled: 1-line block ×4, first 2 shown]
	ds_store_2addr_b32 v28, v0, v1 offset1:169
	ds_store_2addr_b32 v56, v9, v11 offset0:82 offset1:251
	v_pack_b32_f16 v0, v22, v20
	v_pack_b32_f16 v1, v25, v62
	;; [unrolled: 1-line block ×9, first 2 shown]
	ds_store_2addr_b32 v51, v0, v1 offset0:36 offset1:205
	ds_store_2addr_b32 v45, v5, v3 offset0:54 offset1:223
	;; [unrolled: 1-line block ×4, first 2 shown]
	ds_store_b32 v28, v2 offset:8112
	global_wb scope:SCOPE_SE
	s_wait_dscnt 0x0
	s_barrier_signal -1
	s_barrier_wait -1
	global_inv scope:SCOPE_SE
	ds_load_2addr_b32 v[0:1], v28 offset1:169
	s_wait_dscnt 0x0
	v_lshrrev_b32_e32 v4, 16, v0
	s_delay_alu instid0(VALU_DEP_1) | instskip(NEXT) | instid1(VALU_DEP_1)
	v_mul_f16_e32 v2, v59, v4
	v_fmac_f16_e32 v2, v58, v0
	v_mul_f16_e32 v0, v59, v0
	s_delay_alu instid0(VALU_DEP_2) | instskip(NEXT) | instid1(VALU_DEP_2)
	v_cvt_f32_f16_e32 v2, v2
	v_fma_f16 v0, v58, v4, -v0
	s_delay_alu instid0(VALU_DEP_2) | instskip(NEXT) | instid1(VALU_DEP_2)
	v_cvt_f64_f32_e32 v[2:3], v2
	v_cvt_f32_f16_e32 v0, v0
	s_delay_alu instid0(VALU_DEP_1) | instskip(SKIP_1) | instid1(VALU_DEP_1)
	v_cvt_f64_f32_e32 v[4:5], v0
	v_lshrrev_b32_e32 v0, 16, v1
	v_mul_f16_e32 v6, v57, v0
	s_delay_alu instid0(VALU_DEP_1) | instskip(SKIP_1) | instid1(VALU_DEP_2)
	v_fmac_f16_e32 v6, v55, v1
	v_mul_f16_e32 v1, v57, v1
	v_cvt_f32_f16_e32 v6, v6
	s_delay_alu instid0(VALU_DEP_2) | instskip(NEXT) | instid1(VALU_DEP_2)
	v_fma_f16 v0, v55, v0, -v1
	v_cvt_f64_f32_e32 v[6:7], v6
	s_delay_alu instid0(VALU_DEP_2) | instskip(SKIP_2) | instid1(VALU_DEP_4)
	v_cvt_f32_f16_e32 v0, v0
	v_mul_f64_e32 v[2:3], s[8:9], v[2:3]
	v_mul_f64_e32 v[4:5], s[8:9], v[4:5]
	;; [unrolled: 1-line block ×3, first 2 shown]
	s_delay_alu instid0(VALU_DEP_3) | instskip(SKIP_2) | instid1(VALU_DEP_3)
	v_and_or_b32 v2, 0x1ff, v3, v2
	v_lshrrev_b32_e32 v8, 8, v3
	v_bfe_u32 v9, v3, 20, 11
	v_cmp_ne_u32_e32 vcc_lo, 0, v2
	v_and_or_b32 v1, 0x1ff, v5, v4
	v_lshrrev_b32_e32 v11, 8, v5
	v_bfe_u32 v13, v5, 20, 11
	v_add_nc_u32_e32 v14, 0xfffffc10, v9
	s_wait_alu 0xfffd
	v_cndmask_b32_e64 v2, 0, 1, vcc_lo
	v_cmp_ne_u32_e32 vcc_lo, 0, v1
	v_cvt_f64_f32_e32 v[0:1], v0
	v_lshrrev_b32_e32 v23, 16, v5
	s_delay_alu instid0(VALU_DEP_4) | instskip(SKIP_3) | instid1(VALU_DEP_3)
	v_and_or_b32 v12, 0xffe, v8, v2
	v_sub_nc_u32_e32 v2, 0x3f1, v9
	s_wait_alu 0xfffd
	v_cndmask_b32_e64 v4, 0, 1, vcc_lo
	v_or_b32_e32 v8, 0x1000, v12
	s_delay_alu instid0(VALU_DEP_3) | instskip(NEXT) | instid1(VALU_DEP_3)
	v_med3_i32 v2, v2, 0, 13
	v_and_or_b32 v4, 0xffe, v11, v4
	v_lshl_or_b32 v9, v14, 12, v12
	s_delay_alu instid0(VALU_DEP_3) | instskip(NEXT) | instid1(VALU_DEP_3)
	v_lshrrev_b32_e32 v10, v2, v8
	v_or_b32_e32 v15, 0x1000, v4
	v_and_or_b32 v6, 0x1ff, v7, v6
	s_delay_alu instid0(VALU_DEP_3) | instskip(NEXT) | instid1(VALU_DEP_2)
	v_lshlrev_b32_e32 v2, v2, v10
	v_cmp_ne_u32_e64 s1, 0, v6
	v_lshrrev_b32_e32 v6, 8, v7
	s_delay_alu instid0(VALU_DEP_3) | instskip(SKIP_4) | instid1(VALU_DEP_2)
	v_cmp_ne_u32_e32 vcc_lo, v2, v8
	v_sub_nc_u32_e32 v8, 0x3f1, v13
	s_wait_alu 0xfffd
	v_cndmask_b32_e64 v2, 0, 1, vcc_lo
	v_cmp_gt_i32_e32 vcc_lo, 1, v14
	v_or_b32_e32 v2, v10, v2
	v_med3_i32 v10, v8, 0, 13
	s_wait_alu 0xfffd
	s_delay_alu instid0(VALU_DEP_2) | instskip(NEXT) | instid1(VALU_DEP_2)
	v_cndmask_b32_e32 v2, v9, v2, vcc_lo
	v_lshrrev_b32_e32 v16, v10, v15
	s_delay_alu instid0(VALU_DEP_2) | instskip(NEXT) | instid1(VALU_DEP_2)
	v_and_b32_e32 v11, 7, v2
	v_lshlrev_b32_e32 v17, v10, v16
	v_lshrrev_b32_e32 v2, 2, v2
	s_delay_alu instid0(VALU_DEP_3) | instskip(SKIP_1) | instid1(VALU_DEP_4)
	v_cmp_lt_i32_e32 vcc_lo, 5, v11
	v_cmp_eq_u32_e64 s2, 3, v11
	v_cmp_ne_u32_e64 s0, v17, v15
	v_add_nc_u32_e32 v17, 0xfffffc10, v13
	v_mad_co_u64_u32 v[10:11], null, s6, v24, 0
	s_delay_alu instid0(VALU_DEP_4) | instskip(NEXT) | instid1(VALU_DEP_3)
	s_or_b32 vcc_lo, s2, vcc_lo
	v_cndmask_b32_e64 v15, 0, 1, s0
	s_wait_alu 0xfffe
	v_add_co_ci_u32_e32 v13, vcc_lo, 0, v2, vcc_lo
	v_cmp_ne_u32_e32 vcc_lo, 0, v12
	v_lshl_or_b32 v18, v17, 12, v4
	v_or_b32_e32 v15, v16, v15
	v_mul_f64_e32 v[1:2], s[8:9], v[0:1]
	v_mov_b32_e32 v0, v11
	s_wait_alu 0xfffd
	v_cndmask_b32_e64 v12, 0, 1, vcc_lo
	v_cmp_gt_i32_e32 vcc_lo, 1, v17
	s_mul_u64 s[2:3], s[4:5], 0x2a4
	s_wait_alu 0xfffd
	v_cndmask_b32_e32 v15, v18, v15, vcc_lo
	ds_load_2addr_b32 v[8:9], v56 offset0:82 offset1:251
	v_cmp_gt_i32_e32 vcc_lo, 31, v14
	v_lshl_or_b32 v18, v12, 9, 0x7c00
	v_and_b32_e32 v20, 7, v15
	v_lshrrev_b32_e32 v15, 2, v15
	s_wait_alu 0xfffd
	v_cndmask_b32_e32 v13, 0x7c00, v13, vcc_lo
	v_cmp_eq_u32_e32 vcc_lo, 0x40f, v14
	v_cmp_eq_u32_e64 s0, 3, v20
	s_wait_alu 0xfffd
	s_delay_alu instid0(VALU_DEP_3)
	v_cndmask_b32_e32 v14, v13, v18, vcc_lo
	v_cmp_lt_i32_e32 vcc_lo, 5, v20
	v_bfe_u32 v18, v7, 20, 11
	v_lshrrev_b32_e32 v7, 16, v7
	s_or_b32 vcc_lo, s0, vcc_lo
	s_wait_dscnt 0x0
	v_lshrrev_b32_e32 v16, 16, v8
	s_wait_alu 0xfffe
	v_add_co_ci_u32_e32 v15, vcc_lo, 0, v15, vcc_lo
	v_cmp_ne_u32_e32 vcc_lo, 0, v4
	s_delay_alu instid0(VALU_DEP_3) | instskip(SKIP_3) | instid1(VALU_DEP_3)
	v_mul_f16_e32 v19, v54, v16
	s_wait_alu 0xfffd
	v_cndmask_b32_e64 v4, 0, 1, vcc_lo
	v_mad_co_u64_u32 v[11:12], null, s7, v24, v[0:1]
	v_fmac_f16_e32 v19, v53, v8
	v_mul_f16_e32 v8, v54, v8
	v_cmp_gt_i32_e32 vcc_lo, 31, v17
	v_lshl_or_b32 v20, v4, 9, 0x7c00
	v_and_or_b32 v1, 0x1ff, v2, v1
	v_cvt_f32_f16_e32 v0, v19
	v_fma_f16 v8, v53, v16, -v8
	s_wait_alu 0xfffd
	v_cndmask_b32_e32 v15, 0x7c00, v15, vcc_lo
	v_cmp_eq_u32_e32 vcc_lo, 0x40f, v17
	v_lshrrev_b32_e32 v17, 8, v2
	v_cvt_f64_f32_e32 v[12:13], v0
	v_cndmask_b32_e64 v0, 0, 1, s1
	v_bfe_u32 v22, v2, 20, 11
	s_wait_alu 0xfffd
	v_cndmask_b32_e32 v15, v15, v20, vcc_lo
	v_cmp_ne_u32_e32 vcc_lo, 0, v1
	v_lshlrev_b64_e32 v[10:11], 2, v[10:11]
	v_and_or_b32 v19, 0xffe, v6, v0
	v_sub_nc_u32_e32 v0, 0x3f1, v18
	v_lshrrev_b32_e32 v6, 16, v3
	v_add_nc_u32_e32 v18, 0xfffffc10, v18
	v_mad_co_u64_u32 v[3:4], null, s4, v50, 0
	v_or_b32_e32 v21, 0x1000, v19
	v_med3_i32 v0, v0, 0, 13
	v_and_or_b32 v14, 0x8000, v6, v14
	v_cvt_f32_f16_e32 v6, v8
	s_wait_alu 0xfffd
	v_cndmask_b32_e64 v8, 0, 1, vcc_lo
	v_and_or_b32 v15, 0x8000, v23, v15
	v_lshrrev_b32_e32 v16, v0, v21
	v_and_b32_e32 v14, 0xffff, v14
	s_delay_alu instid0(VALU_DEP_4) | instskip(NEXT) | instid1(VALU_DEP_3)
	v_and_or_b32 v8, 0xffe, v17, v8
	v_lshlrev_b32_e32 v20, v0, v16
	v_cvt_f64_f32_e32 v[0:1], v6
	s_delay_alu instid0(VALU_DEP_4) | instskip(SKIP_1) | instid1(VALU_DEP_4)
	v_lshl_or_b32 v15, v15, 16, v14
	v_add_nc_u32_e32 v14, 0xfffffc10, v22
	v_cmp_ne_u32_e32 vcc_lo, v20, v21
	v_or_b32_e32 v20, 0x1000, v8
	s_wait_alu 0xfffd
	v_cndmask_b32_e64 v17, 0, 1, vcc_lo
	v_cmp_gt_i32_e32 vcc_lo, 1, v18
	v_mul_f64_e32 v[5:6], s[8:9], v[12:13]
	v_sub_nc_u32_e32 v12, 0x3f1, v22
	s_delay_alu instid0(VALU_DEP_4) | instskip(SKIP_1) | instid1(VALU_DEP_3)
	v_or_b32_e32 v16, v16, v17
	v_lshl_or_b32 v17, v18, 12, v19
	v_med3_i32 v21, v12, 0, 13
	v_mad_co_u64_u32 v[12:13], null, s5, v50, v[4:5]
	s_wait_alu 0xfffd
	s_delay_alu instid0(VALU_DEP_3) | instskip(NEXT) | instid1(VALU_DEP_3)
	v_cndmask_b32_e32 v13, v17, v16, vcc_lo
	v_lshrrev_b32_e32 v16, v21, v20
	s_delay_alu instid0(VALU_DEP_2) | instskip(NEXT) | instid1(VALU_DEP_2)
	v_and_b32_e32 v17, 7, v13
	v_dual_mov_b32 v4, v12 :: v_dual_lshlrev_b32 v21, v21, v16
	v_lshrrev_b32_e32 v13, 2, v13
	s_delay_alu instid0(VALU_DEP_3) | instskip(NEXT) | instid1(VALU_DEP_3)
	v_cmp_lt_i32_e32 vcc_lo, 5, v17
	v_cmp_ne_u32_e64 s1, v21, v20
	v_cmp_eq_u32_e64 s0, 3, v17
	v_lshrrev_b32_e32 v21, 16, v9
	s_wait_alu 0xf1ff
	s_delay_alu instid0(VALU_DEP_3)
	v_cndmask_b32_e64 v12, 0, 1, s1
	v_add_co_u32 v17, s1, s10, v10
	s_wait_alu 0xf1ff
	v_add_co_ci_u32_e64 v20, s1, s11, v11, s1
	v_mul_f64_e32 v[10:11], s[8:9], v[0:1]
	s_or_b32 vcc_lo, s0, vcc_lo
	v_or_b32_e32 v12, v16, v12
	s_wait_alu 0xfffe
	v_add_co_ci_u32_e32 v0, vcc_lo, 0, v13, vcc_lo
	v_cmp_ne_u32_e32 vcc_lo, 0, v19
	v_lshl_or_b32 v16, v14, 12, v8
	v_and_or_b32 v1, 0x1ff, v6, v5
	v_mul_f16_e32 v5, v52, v21
	v_bfe_u32 v19, v6, 20, 11
	s_wait_alu 0xfffd
	v_cndmask_b32_e64 v13, 0, 1, vcc_lo
	v_cmp_gt_i32_e32 vcc_lo, 1, v14
	v_cmp_eq_u32_e64 s1, 0x40f, v18
	v_fmac_f16_e32 v5, v49, v9
	v_sub_nc_u32_e32 v24, 0x3f1, v19
	v_mul_f16_e32 v9, v52, v9
	s_wait_alu 0xfffd
	v_cndmask_b32_e32 v12, v16, v12, vcc_lo
	v_cmp_ne_u32_e32 vcc_lo, 0, v1
	v_lshrrev_b32_e32 v16, 8, v6
	v_cvt_f32_f16_e32 v5, v5
	v_med3_i32 v24, v24, 0, 13
	v_and_b32_e32 v23, 7, v12
	s_wait_alu 0xfffd
	v_cndmask_b32_e64 v1, 0, 1, vcc_lo
	v_cmp_gt_i32_e32 vcc_lo, 31, v18
	v_lshrrev_b32_e32 v12, 2, v12
	v_add_nc_u32_e32 v19, 0xfffffc10, v19
	v_cmp_eq_u32_e64 s0, 3, v23
	v_and_or_b32 v16, 0xffe, v16, v1
	s_wait_alu 0xfffd
	v_cndmask_b32_e32 v22, 0x7c00, v0, vcc_lo
	v_cmp_lt_i32_e32 vcc_lo, 5, v23
	v_cvt_f64_f32_e32 v[0:1], v5
	v_lshl_or_b32 v5, v13, 9, 0x7c00
	v_or_b32_e32 v13, 0x1000, v16
	s_or_b32 vcc_lo, s0, vcc_lo
	s_wait_alu 0xfffe
	v_add_co_ci_u32_e32 v12, vcc_lo, 0, v12, vcc_lo
	v_cmp_ne_u32_e32 vcc_lo, 0, v8
	v_lshrrev_b32_e32 v18, v24, v13
	v_and_or_b32 v10, 0x1ff, v11, v10
	v_cndmask_b32_e64 v5, v22, v5, s1
	s_wait_alu 0xfffd
	v_cndmask_b32_e64 v8, 0, 1, vcc_lo
	v_cmp_gt_i32_e32 vcc_lo, 31, v14
	v_lshlrev_b32_e32 v22, v24, v18
	v_and_or_b32 v5, 0x8000, v7, v5
	s_delay_alu instid0(VALU_DEP_4)
	v_lshl_or_b32 v23, v8, 9, 0x7c00
	s_wait_alu 0xfffd
	v_cndmask_b32_e32 v12, 0x7c00, v12, vcc_lo
	v_cmp_ne_u32_e32 vcc_lo, 0, v10
	v_fma_f16 v8, v49, v21, -v9
	v_lshrrev_b32_e32 v9, 8, v11
	v_and_b32_e32 v5, 0xffff, v5
	s_wait_alu 0xfffd
	v_cndmask_b32_e64 v7, 0, 1, vcc_lo
	v_cmp_ne_u32_e32 vcc_lo, v22, v13
	v_cvt_f32_f16_e32 v8, v8
	v_bfe_u32 v13, v11, 20, 11
	v_lshl_or_b32 v22, v19, 12, v16
	v_and_or_b32 v21, 0xffe, v9, v7
	s_wait_alu 0xfffd
	v_cndmask_b32_e64 v10, 0, 1, vcc_lo
	v_cvt_f64_f32_e32 v[7:8], v8
	v_cmp_eq_u32_e32 vcc_lo, 0x40f, v14
	v_sub_nc_u32_e32 v9, 0x3f1, v13
	v_or_b32_e32 v24, 0x1000, v21
	v_or_b32_e32 v18, v18, v10
	v_lshrrev_b32_e32 v14, 16, v2
	s_wait_alu 0xfffd
	v_cndmask_b32_e32 v12, v12, v23, vcc_lo
	v_cmp_gt_i32_e32 vcc_lo, 1, v19
	v_med3_i32 v25, v9, 0, 13
	ds_load_2addr_b32 v[9:10], v51 offset0:36 offset1:205
	v_lshlrev_b64_e32 v[2:3], 2, v[3:4]
	v_and_or_b32 v4, 0x8000, v14, v12
	s_wait_alu 0xfffd
	v_cndmask_b32_e32 v18, v22, v18, vcc_lo
	v_lshrrev_b32_e32 v22, v25, v24
	v_mul_f64_e32 v[0:1], s[8:9], v[0:1]
	v_add_nc_u32_e32 v13, 0xfffffc10, v13
	v_add_co_u32 v2, vcc_lo, v17, v2
	v_and_b32_e32 v12, 7, v18
	v_lshlrev_b32_e32 v14, v25, v22
	s_wait_alu 0xfffd
	v_add_co_ci_u32_e32 v3, vcc_lo, v20, v3, vcc_lo
	v_lshl_or_b32 v17, v4, 16, v5
	v_cmp_lt_i32_e32 vcc_lo, 5, v12
	v_cmp_eq_u32_e64 s0, 3, v12
	v_lshrrev_b32_e32 v4, 2, v18
	v_cmp_ne_u32_e64 s1, v14, v24
	v_lshl_or_b32 v18, v13, 12, v21
	v_lshrrev_b32_e32 v24, 16, v11
	s_or_b32 vcc_lo, s0, vcc_lo
	s_wait_dscnt 0x0
	v_lshrrev_b32_e32 v14, 16, v9
	s_wait_alu 0xfffe
	v_add_co_ci_u32_e32 v20, vcc_lo, 0, v4, vcc_lo
	v_cndmask_b32_e64 v12, 0, 1, s1
	v_cmp_ne_u32_e32 vcc_lo, 0, v16
	s_delay_alu instid0(VALU_DEP_2) | instskip(SKIP_4) | instid1(VALU_DEP_3)
	v_or_b32_e32 v5, v22, v12
	v_mul_f16_e32 v12, v48, v14
	s_wait_alu 0xfffd
	v_cndmask_b32_e64 v16, 0, 1, vcc_lo
	v_cmp_gt_i32_e32 vcc_lo, 1, v13
	v_fmac_f16_e32 v12, v47, v9
	v_mul_f16_e32 v9, v48, v9
	s_wait_alu 0xfffd
	v_cndmask_b32_e32 v18, v18, v5, vcc_lo
	v_mul_f64_e32 v[4:5], s[8:9], v[7:8]
	v_cmp_gt_i32_e32 vcc_lo, 31, v19
	v_cvt_f32_f16_e32 v7, v12
	v_fma_f16 v9, v47, v14, -v9
	v_lshl_or_b32 v16, v16, 9, 0x7c00
	v_and_or_b32 v0, 0x1ff, v1, v0
	s_wait_alu 0xfffd
	v_cndmask_b32_e32 v12, 0x7c00, v20, vcc_lo
	v_and_b32_e32 v20, 7, v18
	v_cvt_f64_f32_e32 v[7:8], v7
	v_lshrrev_b32_e32 v18, 2, v18
	v_cmp_ne_u32_e64 s1, 0, v0
	v_bfe_u32 v22, v1, 20, 11
	v_cmp_lt_i32_e32 vcc_lo, 5, v20
	v_cmp_eq_u32_e64 s0, 3, v20
	v_lshrrev_b32_e32 v20, 8, v1
	s_wait_alu 0xf1ff
	v_cndmask_b32_e64 v0, 0, 1, s1
	v_cvt_f32_f16_e32 v9, v9
	v_lshrrev_b32_e32 v1, 16, v1
	s_or_b32 vcc_lo, s0, vcc_lo
	s_wait_alu 0xfffe
	v_add_co_ci_u32_e32 v18, vcc_lo, 0, v18, vcc_lo
	v_cmp_ne_u32_e32 vcc_lo, 0, v21
	v_and_or_b32 v0, 0xffe, v20, v0
	v_sub_nc_u32_e32 v20, 0x3f1, v22
	v_add_nc_u32_e32 v22, 0xfffffc10, v22
	s_wait_alu 0xfffd
	v_cndmask_b32_e64 v21, 0, 1, vcc_lo
	v_cmp_gt_i32_e32 vcc_lo, 31, v13
	v_or_b32_e32 v23, 0x1000, v0
	v_med3_i32 v20, v20, 0, 13
	s_delay_alu instid0(VALU_DEP_4)
	v_lshl_or_b32 v14, v21, 9, 0x7c00
	s_wait_alu 0xfffd
	v_cndmask_b32_e32 v18, 0x7c00, v18, vcc_lo
	v_cmp_eq_u32_e32 vcc_lo, 0x40f, v19
	v_lshrrev_b32_e32 v19, v20, v23
	v_lshrrev_b32_e32 v21, 16, v6
	v_and_or_b32 v4, 0x1ff, v5, v4
	s_wait_alu 0xfffd
	v_cndmask_b32_e32 v16, v12, v16, vcc_lo
	v_cmp_eq_u32_e32 vcc_lo, 0x40f, v13
	v_cvt_f64_f32_e32 v[11:12], v9
	v_lshlrev_b32_e32 v9, v20, v19
	v_bfe_u32 v20, v5, 20, 11
	v_and_or_b32 v16, 0x8000, v21, v16
	s_wait_alu 0xfffd
	v_cndmask_b32_e32 v18, v18, v14, vcc_lo
	v_add_co_u32 v13, vcc_lo, v2, s2
	s_wait_alu 0xfffd
	v_add_co_ci_u32_e32 v14, vcc_lo, s3, v3, vcc_lo
	v_cmp_ne_u32_e32 vcc_lo, 0, v4
	v_mul_f64_e32 v[6:7], s[8:9], v[7:8]
	v_lshrrev_b32_e32 v8, 8, v5
	v_and_or_b32 v18, 0x8000, v24, v18
	v_and_b32_e32 v16, 0xffff, v16
	s_wait_alu 0xfffd
	v_cndmask_b32_e64 v4, 0, 1, vcc_lo
	v_cmp_ne_u32_e32 vcc_lo, v9, v23
	s_clause 0x1
	global_store_b32 v[2:3], v15, off
	global_store_b32 v[13:14], v17, off
	v_lshrrev_b32_e32 v5, 16, v5
	v_lshl_or_b32 v17, v18, 16, v16
	v_and_or_b32 v4, 0xffe, v8, v4
	v_sub_nc_u32_e32 v8, 0x3f1, v20
	s_wait_alu 0xfffd
	v_cndmask_b32_e64 v9, 0, 1, vcc_lo
	v_cmp_gt_i32_e32 vcc_lo, 1, v22
	v_lshrrev_b32_e32 v18, 16, v10
	v_or_b32_e32 v21, 0x1000, v4
	v_med3_i32 v8, v8, 0, 13
	v_or_b32_e32 v9, v19, v9
	v_lshl_or_b32 v19, v22, 12, v0
	v_add_nc_u32_e32 v20, 0xfffffc10, v20
	s_delay_alu instid0(VALU_DEP_4) | instskip(SKIP_1) | instid1(VALU_DEP_3)
	v_lshrrev_b32_e32 v23, v8, v21
	s_wait_alu 0xfffd
	v_cndmask_b32_e32 v19, v19, v9, vcc_lo
	v_add_co_u32 v2, vcc_lo, v13, s2
	s_delay_alu instid0(VALU_DEP_3)
	v_lshlrev_b32_e32 v16, v8, v23
	s_wait_alu 0xfffd
	v_add_co_ci_u32_e32 v3, vcc_lo, s3, v14, vcc_lo
	v_mul_f16_e32 v13, v46, v18
	v_mul_f64_e32 v[8:9], s[8:9], v[11:12]
	v_cmp_ne_u32_e32 vcc_lo, v16, v21
	v_and_b32_e32 v15, 7, v19
	v_lshl_or_b32 v12, v20, 12, v4
	v_fmac_f16_e32 v13, v44, v10
	v_cmp_gt_i32_e64 s1, 1, v20
	s_wait_alu 0xfffd
	v_cndmask_b32_e64 v11, 0, 1, vcc_lo
	v_cmp_lt_i32_e32 vcc_lo, 5, v15
	v_cmp_eq_u32_e64 s0, 3, v15
	v_cvt_f32_f16_e32 v13, v13
	v_and_or_b32 v6, 0x1ff, v7, v6
	v_or_b32_e32 v11, v23, v11
	v_lshrrev_b32_e32 v14, 2, v19
	s_or_b32 vcc_lo, s0, vcc_lo
	v_bfe_u32 v16, v7, 20, 11
	v_mul_f16_e32 v10, v46, v10
	v_cndmask_b32_e64 v15, v12, v11, s1
	v_cvt_f64_f32_e32 v[11:12], v13
	v_cmp_ne_u32_e64 s1, 0, v6
	s_wait_alu 0xfffe
	v_add_co_ci_u32_e32 v14, vcc_lo, 0, v14, vcc_lo
	v_cmp_gt_i32_e32 vcc_lo, 31, v22
	v_lshrrev_b32_e32 v13, 8, v7
	s_wait_alu 0xf1ff
	v_cndmask_b32_e64 v6, 0, 1, s1
	v_and_b32_e32 v19, 7, v15
	v_fma_f16 v10, v44, v18, -v10
	s_wait_alu 0xfffd
	v_cndmask_b32_e32 v21, 0x7c00, v14, vcc_lo
	v_cmp_ne_u32_e32 vcc_lo, 0, v0
	v_and_or_b32 v6, 0xffe, v13, v6
	v_sub_nc_u32_e32 v13, 0x3f1, v16
	v_cmp_eq_u32_e64 s0, 3, v19
	v_lshrrev_b32_e32 v14, 2, v15
	s_wait_alu 0xfffd
	v_cndmask_b32_e64 v0, 0, 1, vcc_lo
	v_cmp_lt_i32_e32 vcc_lo, 5, v19
	v_or_b32_e32 v23, 0x1000, v6
	v_med3_i32 v13, v13, 0, 13
	v_cvt_f32_f16_e32 v10, v10
	v_lshl_or_b32 v0, v0, 9, 0x7c00
	s_or_b32 vcc_lo, s0, vcc_lo
	v_and_or_b32 v8, 0x1ff, v9, v8
	s_wait_alu 0xfffe
	v_add_co_ci_u32_e32 v14, vcc_lo, 0, v14, vcc_lo
	v_lshrrev_b32_e32 v15, v13, v23
	v_cmp_gt_i32_e32 vcc_lo, 31, v20
	v_lshrrev_b32_e32 v24, 8, v9
	v_bfe_u32 v25, v9, 20, 11
	global_store_b32 v[2:3], v17, off
	s_wait_alu 0xfffd
	v_dual_cndmask_b32 v19, 0x7c00, v14 :: v_dual_lshlrev_b32 v18, v13, v15
	v_cmp_ne_u32_e32 vcc_lo, 0, v8
	v_cvt_f64_f32_e32 v[13:14], v10
	v_lshrrev_b32_e32 v9, 16, v9
	s_wait_alu 0xfffd
	v_cndmask_b32_e64 v8, 0, 1, vcc_lo
	v_cmp_ne_u32_e32 vcc_lo, v18, v23
	v_mul_f64_e32 v[10:11], s[8:9], v[11:12]
	v_sub_nc_u32_e32 v12, 0x3f1, v25
	v_add_nc_u32_e32 v23, 0xfffffc10, v16
	v_and_or_b32 v8, 0xffe, v24, v8
	s_wait_alu 0xfffd
	v_cndmask_b32_e64 v18, 0, 1, vcc_lo
	v_cmp_ne_u32_e32 vcc_lo, 0, v4
	v_med3_i32 v12, v12, 0, 13
	v_lshl_or_b32 v26, v23, 12, v6
	v_or_b32_e32 v24, 0x1000, v8
	v_or_b32_e32 v18, v15, v18
	ds_load_2addr_b32 v[15:16], v45 offset0:54 offset1:223
	s_wait_alu 0xfffd
	v_cndmask_b32_e64 v4, 0, 1, vcc_lo
	v_cmp_eq_u32_e32 vcc_lo, 0x40f, v22
	v_add_nc_u32_e32 v22, 0xfffffc10, v25
	s_delay_alu instid0(VALU_DEP_3)
	v_lshl_or_b32 v4, v4, 9, 0x7c00
	s_wait_alu 0xfffd
	v_cndmask_b32_e32 v0, v21, v0, vcc_lo
	v_lshrrev_b32_e32 v21, v12, v24
	v_cmp_gt_i32_e32 vcc_lo, 1, v23
	v_cmp_gt_i32_e64 s1, 1, v22
	s_delay_alu instid0(VALU_DEP_4) | instskip(SKIP_3) | instid1(VALU_DEP_2)
	v_and_or_b32 v0, 0x8000, v1, v0
	s_wait_alu 0xfffd
	v_dual_cndmask_b32 v18, v26, v18 :: v_dual_lshlrev_b32 v1, v12, v21
	v_cmp_eq_u32_e32 vcc_lo, 0x40f, v20
	v_cmp_ne_u32_e64 s0, v1, v24
	s_delay_alu instid0(VALU_DEP_3)
	v_and_b32_e32 v12, 7, v18
	s_wait_alu 0xfffd
	v_cndmask_b32_e32 v4, v19, v4, vcc_lo
	s_wait_dscnt 0x0
	v_lshrrev_b32_e32 v20, 16, v15
	v_and_b32_e32 v19, 0xffff, v0
	v_mul_f64_e32 v[0:1], s[8:9], v[13:14]
	v_cmp_lt_i32_e32 vcc_lo, 5, v12
	v_and_or_b32 v17, 0x8000, v5, v4
	s_wait_alu 0xf1ff
	v_cndmask_b32_e64 v4, 0, 1, s0
	v_cmp_eq_u32_e64 s0, 3, v12
	v_lshrrev_b32_e32 v13, 2, v18
	v_mul_f16_e32 v5, v43, v20
	v_lshl_or_b32 v12, v22, 12, v8
	v_or_b32_e32 v4, v21, v4
	s_or_b32 vcc_lo, s0, vcc_lo
	v_and_or_b32 v10, 0x1ff, v11, v10
	s_wait_alu 0xfffe
	v_add_co_ci_u32_e32 v13, vcc_lo, 0, v13, vcc_lo
	v_fmac_f16_e32 v5, v42, v15
	v_cmp_ne_u32_e32 vcc_lo, 0, v6
	v_cndmask_b32_e64 v12, v12, v4, s1
	v_lshrrev_b32_e32 v18, 8, v11
	v_bfe_u32 v21, v11, 20, 11
	v_cvt_f32_f16_e32 v4, v5
	s_wait_alu 0xfffd
	v_cndmask_b32_e64 v6, 0, 1, vcc_lo
	v_cmp_ne_u32_e32 vcc_lo, 0, v10
	v_and_b32_e32 v14, 7, v12
	v_lshrrev_b32_e32 v12, 2, v12
	v_cvt_f64_f32_e32 v[4:5], v4
	v_lshl_or_b32 v6, v6, 9, 0x7c00
	s_wait_alu 0xfffd
	v_cndmask_b32_e64 v10, 0, 1, vcc_lo
	v_cmp_gt_i32_e32 vcc_lo, 31, v23
	v_cmp_eq_u32_e64 s0, 3, v14
	v_lshrrev_b32_e32 v24, 16, v7
	v_lshl_or_b32 v17, v17, 16, v19
	v_and_or_b32 v10, 0xffe, v18, v10
	s_wait_alu 0xfffd
	v_cndmask_b32_e32 v13, 0x7c00, v13, vcc_lo
	v_cmp_lt_i32_e32 vcc_lo, 5, v14
	v_sub_nc_u32_e32 v18, 0x3f1, v21
	v_or_b32_e32 v14, 0x1000, v10
	s_or_b32 vcc_lo, s0, vcc_lo
	s_delay_alu instid0(VALU_DEP_2)
	v_med3_i32 v18, v18, 0, 13
	s_wait_alu 0xfffe
	v_add_co_ci_u32_e32 v12, vcc_lo, 0, v12, vcc_lo
	v_cmp_ne_u32_e32 vcc_lo, 0, v8
	v_and_or_b32 v0, 0x1ff, v1, v0
	s_wait_alu 0xfffd
	v_cndmask_b32_e64 v8, 0, 1, vcc_lo
	v_cmp_eq_u32_e32 vcc_lo, 0x40f, v23
	v_lshrrev_b32_e32 v23, v18, v14
	s_delay_alu instid0(VALU_DEP_3)
	v_lshl_or_b32 v8, v8, 9, 0x7c00
	s_wait_alu 0xfffd
	v_cndmask_b32_e32 v13, v13, v6, vcc_lo
	v_mul_f16_e32 v6, v43, v15
	v_cmp_gt_i32_e32 vcc_lo, 31, v22
	v_lshlrev_b32_e32 v7, v18, v23
	v_lshrrev_b32_e32 v15, 8, v1
	v_add_nc_u32_e32 v18, 0xfffffc10, v21
	v_fma_f16 v6, v42, v20, -v6
	s_wait_alu 0xfffd
	v_cndmask_b32_e32 v12, 0x7c00, v12, vcc_lo
	v_cmp_ne_u32_e32 vcc_lo, 0, v0
	v_bfe_u32 v20, v1, 20, 11
	v_mul_f64_e32 v[4:5], s[8:9], v[4:5]
	v_cvt_f32_f16_e32 v6, v6
	v_lshl_or_b32 v21, v18, 12, v10
	s_wait_alu 0xfffd
	v_cndmask_b32_e64 v0, 0, 1, vcc_lo
	v_cmp_ne_u32_e32 vcc_lo, v7, v14
	v_and_or_b32 v13, 0x8000, v24, v13
	v_cvt_f64_f32_e32 v[6:7], v6
	v_lshrrev_b32_e32 v1, 16, v1
	v_and_or_b32 v0, 0xffe, v15, v0
	v_sub_nc_u32_e32 v15, 0x3f1, v20
	s_wait_alu 0xfffd
	v_cndmask_b32_e64 v14, 0, 1, vcc_lo
	v_cmp_eq_u32_e32 vcc_lo, 0x40f, v22
	s_delay_alu instid0(VALU_DEP_3) | instskip(NEXT) | instid1(VALU_DEP_3)
	v_med3_i32 v15, v15, 0, 13
	v_or_b32_e32 v14, v23, v14
	s_wait_alu 0xfffd
	v_cndmask_b32_e32 v8, v12, v8, vcc_lo
	v_or_b32_e32 v12, 0x1000, v0
	v_cmp_gt_i32_e32 vcc_lo, 1, v18
	s_delay_alu instid0(VALU_DEP_3) | instskip(NEXT) | instid1(VALU_DEP_3)
	v_and_or_b32 v8, 0x8000, v9, v8
	v_lshrrev_b32_e32 v22, v15, v12
	s_wait_alu 0xfffd
	v_dual_cndmask_b32 v14, v21, v14 :: v_dual_and_b32 v9, 0xffff, v13
	v_add_co_u32 v2, vcc_lo, v2, s2
	s_delay_alu instid0(VALU_DEP_3) | instskip(NEXT) | instid1(VALU_DEP_3)
	v_lshlrev_b32_e32 v13, v15, v22
	v_and_b32_e32 v15, 7, v14
	s_wait_alu 0xfffd
	v_add_co_ci_u32_e32 v3, vcc_lo, s3, v3, vcc_lo
	v_lshl_or_b32 v19, v8, 16, v9
	v_lshrrev_b32_e32 v8, 2, v14
	v_cmp_lt_i32_e32 vcc_lo, 5, v15
	v_cmp_eq_u32_e64 s0, 3, v15
	v_lshrrev_b32_e32 v15, 16, v16
	v_cmp_ne_u32_e64 s1, v13, v12
	v_add_nc_u32_e32 v14, 0xfffffc10, v20
	v_and_or_b32 v4, 0x1ff, v5, v4
	s_or_b32 vcc_lo, s0, vcc_lo
	v_mul_f16_e32 v12, v41, v15
	s_wait_alu 0xfffe
	v_add_co_ci_u32_e32 v8, vcc_lo, 0, v8, vcc_lo
	v_cndmask_b32_e64 v9, 0, 1, s1
	v_cmp_ne_u32_e32 vcc_lo, 0, v10
	v_lshl_or_b32 v13, v14, 12, v0
	v_fmac_f16_e32 v12, v39, v16
	v_mul_f64_e32 v[6:7], s[8:9], v[6:7]
	v_or_b32_e32 v9, v22, v9
	s_wait_alu 0xfffd
	v_cndmask_b32_e64 v10, 0, 1, vcc_lo
	v_cmp_gt_i32_e32 vcc_lo, 1, v14
	v_cvt_f32_f16_e32 v12, v12
	v_bfe_u32 v22, v5, 20, 11
	v_mul_f16_e32 v16, v41, v16
	v_lshl_or_b32 v10, v10, 9, 0x7c00
	s_wait_alu 0xfffd
	v_cndmask_b32_e32 v13, v13, v9, vcc_lo
	v_cmp_gt_i32_e32 vcc_lo, 31, v18
	v_lshrrev_b32_e32 v21, 8, v5
	global_store_b32 v[2:3], v17, off
	v_lshrrev_b32_e32 v5, 16, v5
	s_wait_alu 0xfffd
	v_cndmask_b32_e32 v20, 0x7c00, v8, vcc_lo
	v_cvt_f64_f32_e32 v[8:9], v12
	v_cmp_ne_u32_e32 vcc_lo, 0, v4
	v_and_b32_e32 v12, 7, v13
	s_wait_alu 0xfffd
	v_cndmask_b32_e64 v4, 0, 1, vcc_lo
	v_cmp_eq_u32_e32 vcc_lo, 0x40f, v18
	s_delay_alu instid0(VALU_DEP_3) | instskip(NEXT) | instid1(VALU_DEP_3)
	v_cmp_eq_u32_e64 s0, 3, v12
	v_and_or_b32 v4, 0xffe, v21, v4
	s_wait_alu 0xfffd
	v_cndmask_b32_e32 v18, v20, v10, vcc_lo
	v_sub_nc_u32_e32 v10, 0x3f1, v22
	v_cmp_lt_i32_e32 vcc_lo, 5, v12
	v_lshrrev_b32_e32 v12, 2, v13
	v_or_b32_e32 v20, 0x1000, v4
	v_add_nc_u32_e32 v22, 0xfffffc10, v22
	v_med3_i32 v13, v10, 0, 13
	v_fma_f16 v10, v39, v15, -v16
	s_or_b32 vcc_lo, s0, vcc_lo
	v_lshrrev_b32_e32 v15, 16, v11
	s_wait_alu 0xfffe
	v_add_co_ci_u32_e32 v12, vcc_lo, 0, v12, vcc_lo
	v_cvt_f32_f16_e32 v10, v10
	v_cmp_ne_u32_e32 vcc_lo, 0, v0
	v_lshrrev_b32_e32 v16, v13, v20
	v_and_or_b32 v6, 0x1ff, v7, v6
	v_bfe_u32 v24, v7, 20, 11
	v_cvt_f64_f32_e32 v[10:11], v10
	s_wait_alu 0xfffd
	v_cndmask_b32_e64 v0, 0, 1, vcc_lo
	v_cmp_gt_i32_e32 vcc_lo, 31, v14
	v_lshlrev_b32_e32 v23, v13, v16
	v_and_or_b32 v18, 0x8000, v15, v18
	s_delay_alu instid0(VALU_DEP_4)
	v_lshl_or_b32 v0, v0, 9, 0x7c00
	s_wait_alu 0xfffd
	v_cndmask_b32_e32 v21, 0x7c00, v12, vcc_lo
	v_add_co_u32 v12, vcc_lo, v2, s2
	s_wait_alu 0xfffd
	v_add_co_ci_u32_e32 v13, vcc_lo, s3, v3, vcc_lo
	v_cmp_eq_u32_e32 vcc_lo, 0x40f, v14
	v_mul_f64_e32 v[8:9], s[8:9], v[8:9]
	ds_load_2addr_b32 v[14:15], v40 offset0:72 offset1:241
	v_and_b32_e32 v18, 0xffff, v18
	global_store_b32 v[12:13], v19, off
	s_wait_alu 0xfffd
	v_cndmask_b32_e32 v0, v21, v0, vcc_lo
	v_cmp_ne_u32_e32 vcc_lo, 0, v6
	v_lshrrev_b32_e32 v21, 8, v7
	v_lshrrev_b32_e32 v7, 16, v7
	s_delay_alu instid0(VALU_DEP_4) | instskip(SKIP_3) | instid1(VALU_DEP_3)
	v_and_or_b32 v0, 0x8000, v1, v0
	s_wait_alu 0xfffd
	v_cndmask_b32_e64 v6, 0, 1, vcc_lo
	v_cmp_ne_u32_e32 vcc_lo, v23, v20
	v_lshl_or_b32 v18, v0, 16, v18
	s_delay_alu instid0(VALU_DEP_3)
	v_and_or_b32 v6, 0xffe, v21, v6
	v_sub_nc_u32_e32 v21, 0x3f1, v24
	s_wait_alu 0xfffd
	v_cndmask_b32_e64 v20, 0, 1, vcc_lo
	v_cmp_gt_i32_e32 vcc_lo, 1, v22
	v_or_b32_e32 v23, 0x1000, v6
	v_med3_i32 v1, v21, 0, 13
	s_delay_alu instid0(VALU_DEP_4)
	v_or_b32_e32 v16, v16, v20
	v_lshl_or_b32 v20, v22, 12, v4
	s_wait_dscnt 0x0
	v_lshrrev_b32_e32 v19, 16, v14
	v_lshrrev_b32_e32 v17, v1, v23
	s_wait_alu 0xfffd
	v_cndmask_b32_e32 v16, v20, v16, vcc_lo
	v_add_co_u32 v2, vcc_lo, v12, s2
	s_delay_alu instid0(VALU_DEP_3) | instskip(SKIP_1) | instid1(VALU_DEP_4)
	v_lshlrev_b32_e32 v21, v1, v17
	v_mul_f64_e32 v[0:1], s[8:9], v[10:11]
	v_and_b32_e32 v20, 7, v16
	s_wait_alu 0xfffd
	v_add_co_ci_u32_e32 v3, vcc_lo, s3, v13, vcc_lo
	v_cmp_ne_u32_e64 s1, v21, v23
	v_lshrrev_b32_e32 v12, 2, v16
	v_cmp_lt_i32_e32 vcc_lo, 5, v20
	v_cmp_eq_u32_e64 s0, 3, v20
	v_and_or_b32 v8, 0x1ff, v9, v8
	v_mul_f16_e32 v10, v38, v19
	s_wait_alu 0xf1ff
	v_cndmask_b32_e64 v11, 0, 1, s1
	v_add_nc_u32_e32 v20, 0xfffffc10, v24
	s_or_b32 vcc_lo, s0, vcc_lo
	v_cmp_ne_u32_e64 s1, 0, v8
	s_wait_alu 0xfffe
	v_add_co_ci_u32_e32 v12, vcc_lo, 0, v12, vcc_lo
	v_fmac_f16_e32 v10, v37, v14
	v_or_b32_e32 v13, v17, v11
	v_lshl_or_b32 v16, v20, 12, v6
	v_cmp_gt_i32_e32 vcc_lo, 1, v20
	s_wait_alu 0xf1ff
	v_cndmask_b32_e64 v8, 0, 1, s1
	v_lshrrev_b32_e32 v17, 8, v9
	v_bfe_u32 v21, v9, 20, 11
	v_cvt_f32_f16_e32 v10, v10
	s_wait_alu 0xfffd
	v_cndmask_b32_e32 v13, v16, v13, vcc_lo
	v_cmp_ne_u32_e32 vcc_lo, 0, v4
	v_and_or_b32 v8, 0xffe, v17, v8
	v_sub_nc_u32_e32 v16, 0x3f1, v21
	v_cvt_f64_f32_e32 v[10:11], v10
	v_and_b32_e32 v17, 7, v13
	s_wait_alu 0xfffd
	v_cndmask_b32_e64 v4, 0, 1, vcc_lo
	v_cmp_gt_i32_e32 vcc_lo, 31, v22
	v_or_b32_e32 v23, 0x1000, v8
	v_med3_i32 v16, v16, 0, 13
	v_cmp_eq_u32_e64 s0, 3, v17
	v_lshrrev_b32_e32 v13, 2, v13
	s_wait_alu 0xfffd
	v_cndmask_b32_e32 v24, 0x7c00, v12, vcc_lo
	v_cmp_lt_i32_e32 vcc_lo, 5, v17
	v_mul_f16_e32 v12, v38, v14
	v_lshrrev_b32_e32 v14, v16, v23
	v_and_or_b32 v0, 0x1ff, v1, v0
	v_bfe_u32 v25, v1, 20, 11
	s_or_b32 vcc_lo, s0, vcc_lo
	v_fma_f16 v12, v37, v19, -v12
	s_wait_alu 0xfffe
	v_add_co_ci_u32_e32 v17, vcc_lo, 0, v13, vcc_lo
	v_lshlrev_b32_e32 v16, v16, v14
	v_cmp_ne_u32_e32 vcc_lo, 0, v0
	v_cvt_f32_f16_e32 v12, v12
	v_lshrrev_b32_e32 v19, 8, v1
	v_lshl_or_b32 v4, v4, 9, 0x7c00
	v_add_nc_u32_e32 v21, 0xfffffc10, v21
	s_wait_alu 0xfffd
	v_cndmask_b32_e64 v0, 0, 1, vcc_lo
	v_cmp_ne_u32_e32 vcc_lo, v16, v23
	v_cvt_f64_f32_e32 v[12:13], v12
	global_store_b32 v[2:3], v18, off
	v_cmp_eq_u32_e64 s1, 0x40f, v21
	v_and_or_b32 v0, 0xffe, v19, v0
	s_wait_alu 0xfffd
	v_cndmask_b32_e64 v16, 0, 1, vcc_lo
	v_cmp_ne_u32_e32 vcc_lo, 0, v6
	v_sub_nc_u32_e32 v19, 0x3f1, v25
	v_lshrrev_b32_e32 v1, 16, v1
	v_or_b32_e32 v23, 0x1000, v0
	v_or_b32_e32 v14, v14, v16
	s_wait_alu 0xfffd
	v_cndmask_b32_e64 v6, 0, 1, vcc_lo
	v_cmp_gt_i32_e32 vcc_lo, 31, v20
	v_mul_f64_e32 v[10:11], s[8:9], v[10:11]
	v_med3_i32 v19, v19, 0, 13
	v_lshl_or_b32 v16, v21, 12, v8
	v_lshl_or_b32 v6, v6, 9, 0x7c00
	s_wait_alu 0xfffd
	v_cndmask_b32_e32 v17, 0x7c00, v17, vcc_lo
	v_cmp_eq_u32_e32 vcc_lo, 0x40f, v22
	v_lshrrev_b32_e32 v26, v19, v23
	s_wait_alu 0xfffd
	v_cndmask_b32_e32 v4, v24, v4, vcc_lo
	v_cmp_gt_i32_e32 vcc_lo, 1, v21
	s_delay_alu instid0(VALU_DEP_2) | instskip(SKIP_3) | instid1(VALU_DEP_2)
	v_and_or_b32 v4, 0x8000, v5, v4
	s_wait_alu 0xfffd
	v_cndmask_b32_e32 v14, v16, v14, vcc_lo
	v_cmp_eq_u32_e32 vcc_lo, 0x40f, v20
	v_and_b32_e32 v16, 7, v14
	s_wait_alu 0xfffd
	v_cndmask_b32_e32 v6, v17, v6, vcc_lo
	v_lshlrev_b32_e32 v17, v19, v26
	s_delay_alu instid0(VALU_DEP_3) | instskip(NEXT) | instid1(VALU_DEP_3)
	v_cmp_lt_i32_e32 vcc_lo, 5, v16
	v_and_or_b32 v18, 0x8000, v7, v6
	s_delay_alu instid0(VALU_DEP_3) | instskip(SKIP_3) | instid1(VALU_DEP_3)
	v_cmp_ne_u32_e64 s0, v17, v23
	v_lshrrev_b32_e32 v6, 2, v14
	v_add_nc_u32_e32 v17, 0xfffffc10, v25
	s_wait_alu 0xf1ff
	v_cndmask_b32_e64 v5, 0, 1, s0
	v_cmp_eq_u32_e64 s0, 3, v16
	s_delay_alu instid0(VALU_DEP_3) | instskip(SKIP_1) | instid1(VALU_DEP_4)
	v_lshl_or_b32 v14, v17, 12, v0
	v_and_b32_e32 v16, 0xffff, v4
	v_or_b32_e32 v7, v26, v5
	s_delay_alu instid0(VALU_DEP_4)
	s_or_b32 vcc_lo, s0, vcc_lo
	v_mul_f64_e32 v[4:5], s[8:9], v[12:13]
	s_wait_alu 0xfffe
	v_add_co_ci_u32_e32 v6, vcc_lo, 0, v6, vcc_lo
	v_cmp_gt_i32_e32 vcc_lo, 1, v17
	v_lshrrev_b32_e32 v12, 16, v15
	v_and_or_b32 v10, 0x1ff, v11, v10
	v_bfe_u32 v20, v11, 20, 11
	v_lshl_or_b32 v16, v18, 16, v16
	s_wait_alu 0xfffd
	v_cndmask_b32_e32 v13, v14, v7, vcc_lo
	v_cmp_ne_u32_e32 vcc_lo, 0, v8
	v_mul_f16_e32 v7, v36, v12
	v_sub_nc_u32_e32 v22, 0x3f1, v20
	v_add_nc_u32_e32 v20, 0xfffffc10, v20
	v_and_b32_e32 v19, 7, v13
	s_wait_alu 0xfffd
	v_cndmask_b32_e64 v8, 0, 1, vcc_lo
	v_cmp_gt_i32_e32 vcc_lo, 31, v21
	v_fmac_f16_e32 v7, v34, v15
	v_lshrrev_b32_e32 v13, 2, v13
	v_cmp_eq_u32_e64 s0, 3, v19
	v_lshl_or_b32 v8, v8, 9, 0x7c00
	s_wait_alu 0xfffd
	v_cndmask_b32_e32 v14, 0x7c00, v6, vcc_lo
	v_cmp_ne_u32_e32 vcc_lo, 0, v10
	v_lshrrev_b32_e32 v10, 8, v11
	v_cvt_f32_f16_e32 v7, v7
	v_med3_i32 v22, v22, 0, 13
	v_cndmask_b32_e64 v14, v14, v8, s1
	s_wait_alu 0xfffd
	v_cndmask_b32_e64 v6, 0, 1, vcc_lo
	v_cmp_lt_i32_e32 vcc_lo, 5, v19
	v_cmp_eq_u32_e64 s1, 0x40f, v20
	v_lshrrev_b32_e32 v11, 16, v11
	s_delay_alu instid0(VALU_DEP_4)
	v_and_or_b32 v10, 0xffe, v10, v6
	v_cvt_f64_f32_e32 v[6:7], v7
	s_or_b32 vcc_lo, s0, vcc_lo
	s_wait_alu 0xfffe
	v_add_co_ci_u32_e32 v8, vcc_lo, 0, v13, vcc_lo
	v_or_b32_e32 v19, 0x1000, v10
	v_mul_f16_e32 v13, v36, v15
	v_cmp_ne_u32_e32 vcc_lo, 0, v0
	v_lshrrev_b32_e32 v15, 16, v9
	v_and_or_b32 v4, 0x1ff, v5, v4
	v_lshrrev_b32_e32 v21, v22, v19
	v_fma_f16 v9, v34, v12, -v13
	s_wait_alu 0xfffd
	v_cndmask_b32_e64 v0, 0, 1, vcc_lo
	v_cmp_gt_i32_e32 vcc_lo, 31, v17
	v_lshrrev_b32_e32 v23, 8, v5
	v_lshlrev_b32_e32 v12, v22, v21
	v_bfe_u32 v24, v5, 20, 11
	v_lshl_or_b32 v0, v0, 9, 0x7c00
	s_wait_alu 0xfffd
	v_cndmask_b32_e32 v22, 0x7c00, v8, vcc_lo
	v_cvt_f32_f16_e32 v8, v9
	v_cmp_ne_u32_e32 vcc_lo, 0, v4
	v_and_or_b32 v14, 0x8000, v15, v14
	v_lshrrev_b32_e32 v5, 16, v5
	s_delay_alu instid0(VALU_DEP_4)
	v_cvt_f64_f32_e32 v[8:9], v8
	s_wait_alu 0xfffd
	v_cndmask_b32_e64 v4, 0, 1, vcc_lo
	v_cmp_ne_u32_e32 vcc_lo, v12, v19
	ds_load_2addr_b32 v[12:13], v35 offset0:26 offset1:195
	v_and_or_b32 v4, 0xffe, v23, v4
	s_wait_alu 0xfffd
	v_cndmask_b32_e64 v19, 0, 1, vcc_lo
	v_sub_nc_u32_e32 v23, 0x3f1, v24
	v_cmp_eq_u32_e32 vcc_lo, 0x40f, v17
	s_delay_alu instid0(VALU_DEP_3) | instskip(SKIP_1) | instid1(VALU_DEP_4)
	v_or_b32_e32 v17, v21, v19
	v_or_b32_e32 v19, 0x1000, v4
	v_med3_i32 v21, v23, 0, 13
	v_mul_f64_e32 v[6:7], s[8:9], v[6:7]
	s_wait_alu 0xfffd
	v_cndmask_b32_e32 v0, v22, v0, vcc_lo
	v_lshl_or_b32 v22, v20, 12, v10
	v_cmp_gt_i32_e32 vcc_lo, 1, v20
	v_lshrrev_b32_e32 v15, v21, v19
	s_delay_alu instid0(VALU_DEP_4) | instskip(SKIP_2) | instid1(VALU_DEP_3)
	v_and_or_b32 v0, 0x8000, v1, v0
	v_and_b32_e32 v1, 0xffff, v14
	s_wait_alu 0xfffd
	v_dual_cndmask_b32 v17, v22, v17 :: v_dual_lshlrev_b32 v14, v21, v15
	s_wait_dscnt 0x0
	v_lshrrev_b32_e32 v21, 16, v12
	v_add_co_u32 v2, vcc_lo, v2, s2
	s_delay_alu instid0(VALU_DEP_3) | instskip(SKIP_1) | instid1(VALU_DEP_4)
	v_and_b32_e32 v18, 7, v17
	v_cmp_ne_u32_e64 s0, v14, v19
	v_mul_f16_e32 v22, v33, v21
	s_wait_alu 0xfffd
	v_add_co_ci_u32_e32 v3, vcc_lo, s3, v3, vcc_lo
	v_cmp_lt_i32_e32 vcc_lo, 5, v18
	s_wait_alu 0xf1ff
	v_cndmask_b32_e64 v14, 0, 1, s0
	v_fmac_f16_e32 v22, v32, v12
	v_cmp_eq_u32_e64 s0, 3, v18
	v_lshrrev_b32_e32 v17, 2, v17
	v_mul_f64_e32 v[8:9], s[8:9], v[8:9]
	v_or_b32_e32 v18, v15, v14
	v_cvt_f32_f16_e32 v14, v22
	s_or_b32 vcc_lo, s0, vcc_lo
	v_add_nc_u32_e32 v19, 0xfffffc10, v24
	s_wait_alu 0xfffe
	v_add_co_ci_u32_e32 v17, vcc_lo, 0, v17, vcc_lo
	v_cvt_f64_f32_e32 v[14:15], v14
	v_cmp_ne_u32_e32 vcc_lo, 0, v10
	v_lshl_or_b32 v23, v19, 12, v4
	v_lshl_or_b32 v22, v0, 16, v1
	v_mul_f16_e32 v12, v33, v12
	global_store_b32 v[2:3], v16, off
	s_wait_alu 0xfffd
	v_cndmask_b32_e64 v10, 0, 1, vcc_lo
	v_cmp_gt_i32_e32 vcc_lo, 1, v19
	v_and_or_b32 v6, 0x1ff, v7, v6
	v_lshrrev_b32_e32 v24, 8, v7
	v_bfe_u32 v25, v7, 20, 11
	v_lshl_or_b32 v10, v10, 9, 0x7c00
	s_wait_alu 0xfffd
	v_cndmask_b32_e32 v18, v23, v18, vcc_lo
	v_cmp_gt_i32_e32 vcc_lo, 31, v20
	v_cmp_ne_u32_e64 s0, 0, v6
	v_fma_f16 v12, v32, v21, -v12
	v_lshrrev_b32_e32 v7, 16, v7
	v_and_b32_e32 v23, 7, v18
	s_wait_alu 0xfffd
	v_cndmask_b32_e32 v17, 0x7c00, v17, vcc_lo
	v_add_co_u32 v0, vcc_lo, v2, s2
	s_wait_alu 0xfffd
	v_add_co_ci_u32_e32 v1, vcc_lo, s3, v3, vcc_lo
	v_cmp_lt_i32_e32 vcc_lo, 5, v23
	s_wait_alu 0xf1ff
	v_cndmask_b32_e64 v6, 0, 1, s0
	v_cmp_eq_u32_e64 s0, 3, v23
	v_cndmask_b32_e64 v10, v17, v10, s1
	v_lshrrev_b32_e32 v17, 2, v18
	v_cvt_f32_f16_e32 v12, v12
	v_and_or_b32 v18, 0xffe, v24, v6
	s_or_b32 vcc_lo, s0, vcc_lo
	v_sub_nc_u32_e32 v6, 0x3f1, v25
	s_wait_alu 0xfffe
	v_add_co_ci_u32_e32 v17, vcc_lo, 0, v17, vcc_lo
	v_cmp_ne_u32_e32 vcc_lo, 0, v4
	v_or_b32_e32 v20, 0x1000, v18
	v_med3_i32 v6, v6, 0, 13
	v_and_or_b32 v8, 0x1ff, v9, v8
	v_and_or_b32 v24, 0x8000, v11, v10
	s_wait_alu 0xfffd
	v_cndmask_b32_e64 v4, 0, 1, vcc_lo
	v_cmp_gt_i32_e32 vcc_lo, 31, v19
	v_mul_f64_e32 v[10:11], s[8:9], v[14:15]
	v_lshrrev_b32_e32 v23, v6, v20
	v_lshrrev_b32_e32 v14, 8, v9
	v_lshl_or_b32 v4, v4, 9, 0x7c00
	s_wait_alu 0xfffd
	v_cndmask_b32_e32 v17, 0x7c00, v17, vcc_lo
	v_cmp_ne_u32_e32 vcc_lo, 0, v8
	v_lshlrev_b32_e32 v6, v6, v23
	v_bfe_u32 v21, v9, 20, 11
	v_and_b32_e32 v24, 0xffff, v24
	global_store_b32 v[0:1], v22, off
	s_wait_alu 0xfffd
	v_cndmask_b32_e64 v8, 0, 1, vcc_lo
	v_cmp_eq_u32_e32 vcc_lo, 0x40f, v19
	v_lshrrev_b32_e32 v9, 16, v9
	s_delay_alu instid0(VALU_DEP_3)
	v_and_or_b32 v8, 0xffe, v14, v8
	s_wait_alu 0xfffd
	v_cndmask_b32_e32 v4, v17, v4, vcc_lo
	v_cmp_ne_u32_e32 vcc_lo, v6, v20
	v_cvt_f64_f32_e32 v[14:15], v12
	v_add_nc_u32_e32 v12, 0xfffffc10, v25
	v_sub_nc_u32_e32 v17, 0x3f1, v21
	v_or_b32_e32 v19, 0x1000, v8
	s_wait_alu 0xfffd
	v_cndmask_b32_e64 v6, 0, 1, vcc_lo
	v_and_or_b32 v4, 0x8000, v5, v4
	v_lshl_or_b32 v20, v12, 12, v18
	v_cmp_gt_i32_e32 vcc_lo, 1, v12
	v_med3_i32 v17, v17, 0, 13
	v_or_b32_e32 v6, v23, v6
	v_lshrrev_b32_e32 v23, 16, v13
	v_lshl_or_b32 v2, v4, 16, v24
	s_wait_alu 0xfffd
	s_delay_alu instid0(VALU_DEP_3) | instskip(NEXT) | instid1(VALU_DEP_3)
	v_cndmask_b32_e32 v5, v20, v6, vcc_lo
	v_mul_f16_e32 v6, v31, v23
	v_lshrrev_b32_e32 v20, v17, v19
	s_delay_alu instid0(VALU_DEP_3) | instskip(NEXT) | instid1(VALU_DEP_3)
	v_and_b32_e32 v16, 7, v5
	v_fmac_f16_e32 v6, v30, v13
	s_delay_alu instid0(VALU_DEP_3)
	v_lshlrev_b32_e32 v3, v17, v20
	v_and_or_b32 v10, 0x1ff, v11, v10
	v_add_nc_u32_e32 v17, 0xfffffc10, v21
	v_cmp_lt_i32_e32 vcc_lo, 5, v16
	v_cvt_f32_f16_e32 v4, v6
	v_cmp_ne_u32_e64 s0, v3, v19
	v_cmp_ne_u32_e64 s1, 0, v10
	v_lshrrev_b32_e32 v21, 8, v11
	v_bfe_u32 v22, v11, 20, 11
	v_cvt_f64_f32_e32 v[3:4], v4
	s_wait_alu 0xf1ff
	v_cndmask_b32_e64 v6, 0, 1, s0
	v_cndmask_b32_e64 v10, 0, 1, s1
	v_cmp_gt_i32_e64 s1, 1, v17
	v_cmp_eq_u32_e64 s0, 3, v16
	v_lshrrev_b32_e32 v16, 2, v5
	v_or_b32_e32 v19, v20, v6
	v_lshl_or_b32 v20, v17, 12, v8
	v_mul_f64_e32 v[5:6], s[8:9], v[14:15]
	s_or_b32 vcc_lo, s0, vcc_lo
	v_and_or_b32 v15, 0xffe, v21, v10
	s_wait_alu 0xfffe
	v_add_co_ci_u32_e32 v16, vcc_lo, 0, v16, vcc_lo
	v_cndmask_b32_e64 v14, v20, v19, s1
	v_cmp_ne_u32_e32 vcc_lo, 0, v18
	v_sub_nc_u32_e32 v10, 0x3f1, v22
	v_or_b32_e32 v20, 0x1000, v15
	v_cmp_gt_i32_e64 s1, 31, v12
	v_and_b32_e32 v19, 7, v14
	s_wait_alu 0xfffd
	v_cndmask_b32_e64 v18, 0, 1, vcc_lo
	v_lshrrev_b32_e32 v14, 2, v14
	v_med3_i32 v10, v10, 0, 13
	s_wait_alu 0xf1ff
	v_cndmask_b32_e64 v16, 0x7c00, v16, s1
	v_cmp_lt_i32_e32 vcc_lo, 5, v19
	v_cmp_eq_u32_e64 s0, 3, v19
	v_lshl_or_b32 v18, v18, 9, 0x7c00
	v_lshrrev_b32_e32 v19, v10, v20
	v_mul_f16_e32 v13, v31, v13
	s_delay_alu instid0(VALU_DEP_4)
	s_or_b32 vcc_lo, s0, vcc_lo
	s_wait_alu 0xfffe
	v_add_co_ci_u32_e32 v14, vcc_lo, 0, v14, vcc_lo
	v_cmp_eq_u32_e32 vcc_lo, 0x40f, v12
	v_lshlrev_b32_e32 v10, v10, v19
	s_wait_alu 0xfffd
	v_cndmask_b32_e32 v12, v16, v18, vcc_lo
	v_cmp_ne_u32_e32 vcc_lo, 0, v8
	v_mul_f64_e32 v[3:4], s[8:9], v[3:4]
	ds_load_b32 v16, v28 offset:8112
	v_add_nc_u32_e32 v18, 0xfffffc10, v22
	s_wait_alu 0xfffd
	v_cndmask_b32_e64 v8, 0, 1, vcc_lo
	v_cmp_ne_u32_e32 vcc_lo, v10, v20
	v_and_or_b32 v5, 0x1ff, v6, v5
	s_delay_alu instid0(VALU_DEP_3)
	v_lshl_or_b32 v20, v8, 9, 0x7c00
	s_wait_alu 0xfffd
	v_cndmask_b32_e64 v10, 0, 1, vcc_lo
	v_cmp_gt_i32_e32 vcc_lo, 31, v17
	v_fma_f16 v8, v30, v23, -v13
	v_lshl_or_b32 v13, v18, 12, v15
	s_delay_alu instid0(VALU_DEP_4)
	v_or_b32_e32 v10, v19, v10
	s_wait_alu 0xfffd
	v_cndmask_b32_e32 v14, 0x7c00, v14, vcc_lo
	v_cmp_gt_i32_e32 vcc_lo, 1, v18
	v_and_or_b32 v19, 0x8000, v7, v12
	v_cvt_f32_f16_e32 v7, v8
	v_lshrrev_b32_e32 v12, 8, v6
	s_wait_dscnt 0x0
	v_lshrrev_b32_e32 v21, 16, v16
	s_wait_alu 0xfffd
	v_cndmask_b32_e32 v10, v13, v10, vcc_lo
	v_cmp_ne_u32_e32 vcc_lo, 0, v5
	v_cvt_f64_f32_e32 v[7:8], v7
	v_bfe_u32 v13, v6, 20, 11
	v_and_b32_e32 v19, 0xffff, v19
	v_lshrrev_b32_e32 v6, 16, v6
	s_wait_alu 0xfffd
	v_cndmask_b32_e64 v5, 0, 1, vcc_lo
	v_cmp_eq_u32_e32 vcc_lo, 0x40f, v17
	v_and_b32_e32 v17, 7, v10
	s_delay_alu instid0(VALU_DEP_3)
	v_and_or_b32 v5, 0xffe, v12, v5
	s_wait_alu 0xfffd
	v_cndmask_b32_e32 v14, v14, v20, vcc_lo
	v_mul_f16_e32 v20, v29, v21
	v_sub_nc_u32_e32 v12, 0x3f1, v13
	v_cmp_lt_i32_e32 vcc_lo, 5, v17
	v_cmp_eq_u32_e64 s0, 3, v17
	v_and_or_b32 v14, 0x8000, v9, v14
	v_fmac_f16_e32 v20, v27, v16
	v_lshrrev_b32_e32 v9, 2, v10
	v_or_b32_e32 v22, 0x1000, v5
	v_med3_i32 v12, v12, 0, 13
	s_or_b32 vcc_lo, s0, vcc_lo
	v_cvt_f32_f16_e32 v10, v20
	s_wait_alu 0xfffe
	v_add_co_ci_u32_e32 v20, vcc_lo, 0, v9, vcc_lo
	v_lshrrev_b32_e32 v17, v12, v22
	v_and_or_b32 v3, 0x1ff, v4, v3
	v_cmp_ne_u32_e32 vcc_lo, 0, v15
	v_mul_f16_e32 v16, v29, v16
	v_cvt_f64_f32_e32 v[9:10], v10
	v_lshlrev_b32_e32 v12, v12, v17
	v_lshrrev_b32_e32 v23, 8, v4
	s_wait_alu 0xfffd
	v_cndmask_b32_e64 v15, 0, 1, vcc_lo
	v_cmp_ne_u32_e32 vcc_lo, 0, v3
	v_fma_f16 v16, v27, v21, -v16
	v_bfe_u32 v21, v4, 20, 11
	v_lshl_or_b32 v19, v14, 16, v19
	v_lshl_or_b32 v15, v15, 9, 0x7c00
	s_wait_alu 0xfffd
	v_cndmask_b32_e64 v3, 0, 1, vcc_lo
	v_cmp_ne_u32_e32 vcc_lo, v12, v22
	v_add_nc_u32_e32 v22, 0xfffffc10, v13
	v_cvt_f32_f16_e32 v13, v16
	v_mul_f64_e32 v[7:8], s[8:9], v[7:8]
	v_and_or_b32 v3, 0xffe, v23, v3
	s_wait_alu 0xfffd
	v_cndmask_b32_e64 v12, 0, 1, vcc_lo
	v_cmp_gt_i32_e32 vcc_lo, 31, v18
	v_lshl_or_b32 v23, v22, 12, v5
	v_sub_nc_u32_e32 v16, 0x3f1, v21
	v_or_b32_e32 v24, 0x1000, v3
	v_or_b32_e32 v17, v17, v12
	v_cvt_f64_f32_e32 v[12:13], v13
	s_wait_alu 0xfffd
	v_cndmask_b32_e32 v20, 0x7c00, v20, vcc_lo
	v_cmp_gt_i32_e32 vcc_lo, 1, v22
	v_med3_i32 v16, v16, 0, 13
	v_lshrrev_b32_e32 v4, 16, v4
	s_wait_alu 0xfffd
	v_cndmask_b32_e32 v17, v23, v17, vcc_lo
	v_add_co_u32 v0, vcc_lo, v0, s2
	s_wait_alu 0xfffd
	v_add_co_ci_u32_e32 v1, vcc_lo, s3, v1, vcc_lo
	s_delay_alu instid0(VALU_DEP_3)
	v_and_b32_e32 v23, 7, v17
	v_cmp_eq_u32_e32 vcc_lo, 0x40f, v18
	v_lshrrev_b32_e32 v25, v16, v24
	v_lshrrev_b32_e32 v18, 16, v11
	;; [unrolled: 1-line block ×3, first 2 shown]
	v_cmp_eq_u32_e64 s0, 3, v23
	s_wait_alu 0xfffd
	v_cndmask_b32_e32 v15, v20, v15, vcc_lo
	v_cmp_lt_i32_e32 vcc_lo, 5, v23
	v_lshlrev_b32_e32 v16, v16, v25
	v_mul_f64_e32 v[9:10], s[8:9], v[9:10]
	s_delay_alu instid0(VALU_DEP_4) | instskip(SKIP_1) | instid1(VALU_DEP_3)
	v_and_or_b32 v15, 0x8000, v18, v15
	s_or_b32 vcc_lo, s0, vcc_lo
	v_cmp_ne_u32_e64 s1, v16, v24
	s_wait_alu 0xfffe
	v_add_co_ci_u32_e32 v11, vcc_lo, 0, v11, vcc_lo
	v_cmp_ne_u32_e32 vcc_lo, 0, v5
	v_add_nc_u32_e32 v16, 0xfffffc10, v21
	s_wait_alu 0xf1ff
	v_cndmask_b32_e64 v14, 0, 1, s1
	v_and_or_b32 v7, 0x1ff, v8, v7
	v_bfe_u32 v23, v8, 20, 11
	s_wait_alu 0xfffd
	v_cndmask_b32_e64 v5, 0, 1, vcc_lo
	v_cmp_gt_i32_e32 vcc_lo, 31, v22
	v_or_b32_e32 v17, v25, v14
	v_lshl_or_b32 v20, v16, 12, v3
	v_and_b32_e32 v15, 0xffff, v15
	v_lshl_or_b32 v5, v5, 9, 0x7c00
	s_wait_alu 0xfffd
	v_cndmask_b32_e32 v21, 0x7c00, v11, vcc_lo
	v_mul_f64_e32 v[11:12], s[8:9], v[12:13]
	v_add_co_u32 v13, vcc_lo, v0, s2
	s_wait_alu 0xfffd
	v_add_co_ci_u32_e32 v14, vcc_lo, s3, v1, vcc_lo
	v_cmp_gt_i32_e32 vcc_lo, 1, v16
	s_wait_alu 0xfffd
	v_cndmask_b32_e32 v17, v20, v17, vcc_lo
	v_cmp_ne_u32_e32 vcc_lo, 0, v7
	v_lshrrev_b32_e32 v20, 8, v8
	v_lshrrev_b32_e32 v8, 16, v8
	s_wait_alu 0xfffd
	v_cndmask_b32_e64 v7, 0, 1, vcc_lo
	v_cmp_eq_u32_e32 vcc_lo, 0x40f, v22
	v_and_or_b32 v9, 0x1ff, v10, v9
	v_bfe_u32 v22, v10, 20, 11
	s_delay_alu instid0(VALU_DEP_4)
	v_and_or_b32 v7, 0xffe, v20, v7
	s_wait_alu 0xfffd
	v_cndmask_b32_e32 v5, v21, v5, vcc_lo
	v_and_b32_e32 v21, 7, v17
	v_sub_nc_u32_e32 v20, 0x3f1, v23
	v_lshrrev_b32_e32 v17, 2, v17
	s_delay_alu instid0(VALU_DEP_4) | instskip(NEXT) | instid1(VALU_DEP_4)
	v_and_or_b32 v5, 0x8000, v6, v5
	v_cmp_lt_i32_e32 vcc_lo, 5, v21
	v_cmp_eq_u32_e64 s0, 3, v21
	v_or_b32_e32 v6, 0x1000, v7
	v_med3_i32 v18, v20, 0, 13
	v_lshrrev_b32_e32 v21, 8, v10
	s_delay_alu instid0(VALU_DEP_4)
	s_or_b32 vcc_lo, s0, vcc_lo
	s_wait_alu 0xfffe
	v_add_co_ci_u32_e32 v17, vcc_lo, 0, v17, vcc_lo
	v_lshrrev_b32_e32 v20, v18, v6
	v_cmp_ne_u32_e32 vcc_lo, 0, v9
	v_and_or_b32 v11, 0x1ff, v12, v11
	v_lshrrev_b32_e32 v24, 8, v12
	v_bfe_u32 v25, v12, 20, 11
	v_lshlrev_b32_e32 v18, v18, v20
	s_wait_alu 0xfffd
	v_cndmask_b32_e64 v9, 0, 1, vcc_lo
	v_cmp_ne_u32_e32 vcc_lo, 0, v3
	s_delay_alu instid0(VALU_DEP_2)
	v_and_or_b32 v9, 0xffe, v21, v9
	s_wait_alu 0xfffd
	v_cndmask_b32_e64 v3, 0, 1, vcc_lo
	v_cmp_ne_u32_e32 vcc_lo, v18, v6
	v_sub_nc_u32_e32 v21, 0x3f1, v22
	v_add_nc_u32_e32 v18, 0xfffffc10, v23
	v_or_b32_e32 v23, 0x1000, v9
	v_lshl_or_b32 v3, v3, 9, 0x7c00
	s_wait_alu 0xfffd
	v_cndmask_b32_e64 v6, 0, 1, vcc_lo
	v_cmp_gt_i32_e32 vcc_lo, 31, v16
	v_med3_i32 v21, v21, 0, 13
	s_delay_alu instid0(VALU_DEP_3)
	v_or_b32_e32 v6, v20, v6
	s_wait_alu 0xfffd
	v_cndmask_b32_e32 v17, 0x7c00, v17, vcc_lo
	v_cmp_ne_u32_e32 vcc_lo, 0, v11
	v_lshl_or_b32 v20, v18, 12, v7
	v_lshrrev_b32_e32 v26, v21, v23
	s_wait_alu 0xfffd
	v_cndmask_b32_e64 v11, 0, 1, vcc_lo
	v_cmp_gt_i32_e32 vcc_lo, 1, v18
	s_delay_alu instid0(VALU_DEP_2)
	v_and_or_b32 v11, 0xffe, v24, v11
	v_sub_nc_u32_e32 v24, 0x3f1, v25
	s_wait_alu 0xfffd
	v_cndmask_b32_e32 v6, v20, v6, vcc_lo
	v_lshlrev_b32_e32 v20, v21, v26
	v_cmp_eq_u32_e32 vcc_lo, 0x40f, v16
	v_or_b32_e32 v21, 0x1000, v11
	v_med3_i32 v24, v24, 0, 13
	v_and_b32_e32 v27, 7, v6
	v_lshrrev_b32_e32 v6, 2, v6
	s_wait_alu 0xfffd
	v_cndmask_b32_e32 v3, v17, v3, vcc_lo
	v_cmp_ne_u32_e32 vcc_lo, v20, v23
	v_add_nc_u32_e32 v17, 0xfffffc10, v22
	v_lshrrev_b32_e32 v20, v24, v21
	v_cmp_eq_u32_e64 s0, 3, v27
	v_and_or_b32 v3, 0x8000, v4, v3
	s_wait_alu 0xfffd
	v_cndmask_b32_e64 v16, 0, 1, vcc_lo
	v_lshl_or_b32 v22, v17, 12, v9
	v_lshlrev_b32_e32 v23, v24, v20
	v_cmp_gt_i32_e64 s1, 1, v17
	v_cmp_lt_i32_e32 vcc_lo, 5, v27
	v_or_b32_e32 v16, v26, v16
	s_or_b32 vcc_lo, s0, vcc_lo
	s_delay_alu instid0(VALU_DEP_1)
	v_cndmask_b32_e64 v16, v22, v16, s1
	v_cmp_ne_u32_e64 s1, v23, v21
	v_add_nc_u32_e32 v22, 0xfffffc10, v25
	s_wait_alu 0xfffe
	v_add_co_ci_u32_e32 v6, vcc_lo, 0, v6, vcc_lo
	v_and_b32_e32 v23, 7, v16
	s_wait_alu 0xf1ff
	v_cndmask_b32_e64 v21, 0, 1, s1
	v_cmp_ne_u32_e32 vcc_lo, 0, v7
	v_cmp_gt_i32_e64 s0, 1, v22
	v_lshrrev_b32_e32 v16, 2, v16
	v_cmp_gt_i32_e64 s1, 31, v18
	v_or_b32_e32 v20, v20, v21
	v_lshl_or_b32 v21, v22, 12, v11
	s_wait_alu 0xfffd
	v_cndmask_b32_e64 v7, 0, 1, vcc_lo
	v_cmp_lt_i32_e32 vcc_lo, 5, v23
	s_wait_alu 0xf1ff
	v_cndmask_b32_e64 v6, 0x7c00, v6, s1
	v_cmp_eq_u32_e64 s1, 0x40f, v18
	v_cndmask_b32_e64 v4, v21, v20, s0
	v_cmp_eq_u32_e64 s0, 3, v23
	v_lshl_or_b32 v7, v7, 9, 0x7c00
	s_delay_alu instid0(VALU_DEP_3) | instskip(NEXT) | instid1(VALU_DEP_3)
	v_and_b32_e32 v20, 7, v4
	s_or_b32 vcc_lo, s0, vcc_lo
	v_lshrrev_b32_e32 v4, 2, v4
	s_wait_alu 0xfffe
	v_add_co_ci_u32_e32 v16, vcc_lo, 0, v16, vcc_lo
	v_cmp_ne_u32_e32 vcc_lo, 0, v9
	v_cmp_eq_u32_e64 s0, 3, v20
	v_cndmask_b32_e64 v6, v6, v7, s1
	v_cmp_gt_i32_e64 s1, 31, v17
	s_wait_alu 0xfffd
	v_cndmask_b32_e64 v9, 0, 1, vcc_lo
	v_cmp_lt_i32_e32 vcc_lo, 5, v20
	s_wait_alu 0xf1ff
	v_cndmask_b32_e64 v7, 0x7c00, v16, s1
	s_delay_alu instid0(VALU_DEP_3)
	v_lshl_or_b32 v9, v9, 9, 0x7c00
	s_or_b32 vcc_lo, s0, vcc_lo
	s_wait_alu 0xfffe
	v_add_co_ci_u32_e32 v4, vcc_lo, 0, v4, vcc_lo
	v_cmp_ne_u32_e32 vcc_lo, 0, v11
	s_wait_alu 0xfffd
	v_cndmask_b32_e64 v11, 0, 1, vcc_lo
	v_cmp_eq_u32_e32 vcc_lo, 0x40f, v17
	s_wait_alu 0xfffd
	v_cndmask_b32_e32 v7, v7, v9, vcc_lo
	v_cmp_gt_i32_e32 vcc_lo, 31, v22
	v_lshrrev_b32_e32 v9, 16, v10
	v_lshl_or_b32 v10, v11, 9, 0x7c00
	v_lshl_or_b32 v11, v5, 16, v15
	v_and_or_b32 v5, 0x8000, v8, v6
	s_wait_alu 0xfffd
	v_cndmask_b32_e32 v4, 0x7c00, v4, vcc_lo
	v_cmp_eq_u32_e32 vcc_lo, 0x40f, v22
	v_and_b32_e32 v6, 0xffff, v3
	v_and_or_b32 v7, 0x8000, v9, v7
	v_lshrrev_b32_e32 v9, 16, v12
	s_wait_alu 0xfffd
	v_cndmask_b32_e32 v8, v4, v10, vcc_lo
	v_add_co_u32 v3, vcc_lo, v13, s2
	s_wait_alu 0xfffd
	v_add_co_ci_u32_e32 v4, vcc_lo, s3, v14, vcc_lo
	v_lshl_or_b32 v10, v5, 16, v6
	v_and_or_b32 v8, 0x8000, v9, v8
	v_and_b32_e32 v7, 0xffff, v7
	v_add_co_u32 v5, vcc_lo, v3, s2
	s_wait_alu 0xfffd
	v_add_co_ci_u32_e32 v6, vcc_lo, s3, v4, vcc_lo
	s_delay_alu instid0(VALU_DEP_3) | instskip(NEXT) | instid1(VALU_DEP_3)
	v_lshl_or_b32 v9, v8, 16, v7
	v_add_co_u32 v7, vcc_lo, v5, s2
	s_wait_alu 0xfffd
	s_delay_alu instid0(VALU_DEP_3)
	v_add_co_ci_u32_e32 v8, vcc_lo, s3, v6, vcc_lo
	global_store_b32 v[0:1], v2, off
	global_store_b32 v[13:14], v19, off
	;; [unrolled: 1-line block ×5, first 2 shown]
.LBB0_2:
	s_nop 0
	s_sendmsg sendmsg(MSG_DEALLOC_VGPRS)
	s_endpgm
	.section	.rodata,"a",@progbits
	.p2align	6, 0x0
	.amdhsa_kernel bluestein_single_back_len2197_dim1_half_op_CI_CI
		.amdhsa_group_segment_fixed_size 8788
		.amdhsa_private_segment_fixed_size 0
		.amdhsa_kernarg_size 104
		.amdhsa_user_sgpr_count 2
		.amdhsa_user_sgpr_dispatch_ptr 0
		.amdhsa_user_sgpr_queue_ptr 0
		.amdhsa_user_sgpr_kernarg_segment_ptr 1
		.amdhsa_user_sgpr_dispatch_id 0
		.amdhsa_user_sgpr_private_segment_size 0
		.amdhsa_wavefront_size32 1
		.amdhsa_uses_dynamic_stack 0
		.amdhsa_enable_private_segment 0
		.amdhsa_system_sgpr_workgroup_id_x 1
		.amdhsa_system_sgpr_workgroup_id_y 0
		.amdhsa_system_sgpr_workgroup_id_z 0
		.amdhsa_system_sgpr_workgroup_info 0
		.amdhsa_system_vgpr_workitem_id 0
		.amdhsa_next_free_vgpr 186
		.amdhsa_next_free_sgpr 20
		.amdhsa_reserve_vcc 1
		.amdhsa_float_round_mode_32 0
		.amdhsa_float_round_mode_16_64 0
		.amdhsa_float_denorm_mode_32 3
		.amdhsa_float_denorm_mode_16_64 3
		.amdhsa_fp16_overflow 0
		.amdhsa_workgroup_processor_mode 1
		.amdhsa_memory_ordered 1
		.amdhsa_forward_progress 0
		.amdhsa_round_robin_scheduling 0
		.amdhsa_exception_fp_ieee_invalid_op 0
		.amdhsa_exception_fp_denorm_src 0
		.amdhsa_exception_fp_ieee_div_zero 0
		.amdhsa_exception_fp_ieee_overflow 0
		.amdhsa_exception_fp_ieee_underflow 0
		.amdhsa_exception_fp_ieee_inexact 0
		.amdhsa_exception_int_div_zero 0
	.end_amdhsa_kernel
	.text
.Lfunc_end0:
	.size	bluestein_single_back_len2197_dim1_half_op_CI_CI, .Lfunc_end0-bluestein_single_back_len2197_dim1_half_op_CI_CI
                                        ; -- End function
	.section	.AMDGPU.csdata,"",@progbits
; Kernel info:
; codeLenInByte = 32320
; NumSgprs: 22
; NumVgprs: 186
; ScratchSize: 0
; MemoryBound: 0
; FloatMode: 240
; IeeeMode: 1
; LDSByteSize: 8788 bytes/workgroup (compile time only)
; SGPRBlocks: 2
; VGPRBlocks: 23
; NumSGPRsForWavesPerEU: 22
; NumVGPRsForWavesPerEU: 186
; Occupancy: 8
; WaveLimiterHint : 1
; COMPUTE_PGM_RSRC2:SCRATCH_EN: 0
; COMPUTE_PGM_RSRC2:USER_SGPR: 2
; COMPUTE_PGM_RSRC2:TRAP_HANDLER: 0
; COMPUTE_PGM_RSRC2:TGID_X_EN: 1
; COMPUTE_PGM_RSRC2:TGID_Y_EN: 0
; COMPUTE_PGM_RSRC2:TGID_Z_EN: 0
; COMPUTE_PGM_RSRC2:TIDIG_COMP_CNT: 0
	.text
	.p2alignl 7, 3214868480
	.fill 96, 4, 3214868480
	.type	__hip_cuid_b905bad6ac889519,@object ; @__hip_cuid_b905bad6ac889519
	.section	.bss,"aw",@nobits
	.globl	__hip_cuid_b905bad6ac889519
__hip_cuid_b905bad6ac889519:
	.byte	0                               ; 0x0
	.size	__hip_cuid_b905bad6ac889519, 1

	.ident	"AMD clang version 19.0.0git (https://github.com/RadeonOpenCompute/llvm-project roc-6.4.0 25133 c7fe45cf4b819c5991fe208aaa96edf142730f1d)"
	.section	".note.GNU-stack","",@progbits
	.addrsig
	.addrsig_sym __hip_cuid_b905bad6ac889519
	.amdgpu_metadata
---
amdhsa.kernels:
  - .args:
      - .actual_access:  read_only
        .address_space:  global
        .offset:         0
        .size:           8
        .value_kind:     global_buffer
      - .actual_access:  read_only
        .address_space:  global
        .offset:         8
        .size:           8
        .value_kind:     global_buffer
      - .actual_access:  read_only
        .address_space:  global
        .offset:         16
        .size:           8
        .value_kind:     global_buffer
      - .actual_access:  read_only
        .address_space:  global
        .offset:         24
        .size:           8
        .value_kind:     global_buffer
      - .actual_access:  read_only
        .address_space:  global
        .offset:         32
        .size:           8
        .value_kind:     global_buffer
      - .offset:         40
        .size:           8
        .value_kind:     by_value
      - .address_space:  global
        .offset:         48
        .size:           8
        .value_kind:     global_buffer
      - .address_space:  global
        .offset:         56
        .size:           8
        .value_kind:     global_buffer
      - .address_space:  global
        .offset:         64
        .size:           8
        .value_kind:     global_buffer
      - .address_space:  global
        .offset:         72
        .size:           8
        .value_kind:     global_buffer
      - .offset:         80
        .size:           4
        .value_kind:     by_value
      - .address_space:  global
        .offset:         88
        .size:           8
        .value_kind:     global_buffer
      - .address_space:  global
        .offset:         96
        .size:           8
        .value_kind:     global_buffer
    .group_segment_fixed_size: 8788
    .kernarg_segment_align: 8
    .kernarg_segment_size: 104
    .language:       OpenCL C
    .language_version:
      - 2
      - 0
    .max_flat_workgroup_size: 169
    .name:           bluestein_single_back_len2197_dim1_half_op_CI_CI
    .private_segment_fixed_size: 0
    .sgpr_count:     22
    .sgpr_spill_count: 0
    .symbol:         bluestein_single_back_len2197_dim1_half_op_CI_CI.kd
    .uniform_work_group_size: 1
    .uses_dynamic_stack: false
    .vgpr_count:     186
    .vgpr_spill_count: 0
    .wavefront_size: 32
    .workgroup_processor_mode: 1
amdhsa.target:   amdgcn-amd-amdhsa--gfx1201
amdhsa.version:
  - 1
  - 2
...

	.end_amdgpu_metadata
